;; amdgpu-corpus repo=ROCm/rocFFT kind=compiled arch=gfx1201 opt=O3
	.text
	.amdgcn_target "amdgcn-amd-amdhsa--gfx1201"
	.amdhsa_code_object_version 6
	.protected	bluestein_single_back_len2880_dim1_half_op_CI_CI ; -- Begin function bluestein_single_back_len2880_dim1_half_op_CI_CI
	.globl	bluestein_single_back_len2880_dim1_half_op_CI_CI
	.p2align	8
	.type	bluestein_single_back_len2880_dim1_half_op_CI_CI,@function
bluestein_single_back_len2880_dim1_half_op_CI_CI: ; @bluestein_single_back_len2880_dim1_half_op_CI_CI
; %bb.0:
	s_load_b128 s[16:19], s[0:1], 0x28
	v_mul_u32_u24_e32 v1, 0x2ab, v0
	s_mov_b32 s2, exec_lo
	v_mov_b32_e32 v3, 0
	s_delay_alu instid0(VALU_DEP_2) | instskip(NEXT) | instid1(VALU_DEP_1)
	v_lshrrev_b32_e32 v1, 16, v1
	v_add_nc_u32_e32 v2, ttmp9, v1
	s_wait_kmcnt 0x0
	s_delay_alu instid0(VALU_DEP_1)
	v_cmpx_gt_u64_e64 s[16:17], v[2:3]
	s_cbranch_execz .LBB0_2
; %bb.1:
	s_clause 0x1
	s_load_b128 s[8:11], s[0:1], 0x18
	s_load_b128 s[4:7], s[0:1], 0x0
	v_mul_lo_u16 v1, 0x60, v1
	s_load_b64 s[0:1], s[0:1], 0x38
	v_mov_b32_e32 v4, v2
	s_delay_alu instid0(VALU_DEP_2) | instskip(NEXT) | instid1(VALU_DEP_1)
	v_sub_nc_u16 v43, v0, v1
	v_and_b32_e32 v123, 0xffff, v43
	s_delay_alu instid0(VALU_DEP_1)
	v_or_b32_e32 v17, 0x900, v123
	v_or_b32_e32 v21, 0x600, v123
	;; [unrolled: 1-line block ×3, first 2 shown]
	s_wait_kmcnt 0x0
	s_load_b128 s[12:15], s[8:9], 0x0
	v_or_b32_e32 v24, 0x780, v123
	s_clause 0x4
	scratch_store_b64 off, v[4:5], off offset:216
	scratch_store_b32 off, v17, off offset:180
	scratch_store_b32 off, v21, off offset:120
	scratch_store_b32 off, v22, off offset:68
	scratch_store_b32 off, v24, off
	v_or_b32_e32 v81, 0x180, v123
	v_or_b32_e32 v126, 0x480, v123
	;; [unrolled: 1-line block ×3, first 2 shown]
	v_lshlrev_b32_e32 v128, 2, v123
	s_clause 0x2
	global_load_b32 v27, v128, s[4:5]
	global_load_b32 v44, v128, s[4:5] offset:384
	global_load_b32 v41, v128, s[4:5] offset:2688
	v_add_nc_u32_e32 v98, 0xe00, v128
	v_add_nc_u32_e32 v118, 0x2400, v128
	s_wait_kmcnt 0x0
	v_mad_co_u64_u32 v[0:1], null, s14, v2, 0
	v_mad_co_u64_u32 v[2:3], null, s12, v123, 0
	;; [unrolled: 1-line block ×5, first 2 shown]
	s_delay_alu instid0(VALU_DEP_4) | instskip(SKIP_4) | instid1(VALU_DEP_3)
	v_mad_co_u64_u32 v[4:5], null, s15, v4, v[1:2]
	v_mad_co_u64_u32 v[13:14], null, s12, v125, 0
	;; [unrolled: 1-line block ×3, first 2 shown]
	s_mul_u64 s[2:3], s[12:13], 0x480
	s_mul_u64 s[8:9], s[12:13], 0x900
	v_mad_co_u64_u32 v[5:6], null, s13, v123, v[3:4]
	v_mov_b32_e32 v1, v4
	s_mul_i32 s14, s13, 0xffffd900
	v_add_nc_u32_e32 v191, 0x800, v128
	s_wait_alu 0xfffe
	s_sub_co_i32 s14, s14, s12
	v_add_nc_u32_e32 v121, 0x1a00, v128
	v_lshlrev_b64_e32 v[0:1], 2, v[0:1]
	v_mov_b32_e32 v3, v5
	v_add_nc_u32_e32 v129, 0x1000, v128
	v_add_nc_u32_e32 v135, 0xc00, v128
	;; [unrolled: 1-line block ×4, first 2 shown]
	v_lshlrev_b64_e32 v[5:6], 2, v[2:3]
	v_add_co_u32 v3, vcc_lo, s18, v0
	v_add_co_ci_u32_e32 v4, vcc_lo, s19, v1, vcc_lo
	v_add_nc_u32_e32 v137, 0x200, v128
	s_delay_alu instid0(VALU_DEP_3) | instskip(SKIP_1) | instid1(VALU_DEP_3)
	v_add_co_u32 v0, vcc_lo, v3, v5
	s_wait_alu 0xfffd
	v_add_co_ci_u32_e32 v1, vcc_lo, v4, v6, vcc_lo
	v_mad_co_u64_u32 v[5:6], null, s12, v17, 0
	v_add_nc_u32_e32 v119, 0x1c00, v128
	global_load_b32 v2, v[0:1], off
	s_clause 0x1
	global_load_b32 v45, v128, s[4:5] offset:1536
	global_load_b32 v32, v128, s[4:5] offset:1920
	v_add_nc_u32_e32 v95, 0x1800, v128
	v_add_nc_u32_e32 v107, 0x400, v128
	;; [unrolled: 1-line block ×3, first 2 shown]
	v_mad_co_u64_u32 v[17:18], null, s13, v17, v[6:7]
	v_mad_co_u64_u32 v[18:19], null, s13, v81, v[8:9]
	;; [unrolled: 1-line block ×3, first 2 shown]
	s_delay_alu instid0(VALU_DEP_3) | instskip(NEXT) | instid1(VALU_DEP_2)
	v_mov_b32_e32 v6, v17
	v_dual_mov_b32 v8, v18 :: v_dual_mov_b32 v17, v20
	v_mad_co_u64_u32 v[20:21], null, s13, v21, v[10:11]
	v_mad_co_u64_u32 v[21:22], null, s13, v22, v[12:13]
	s_delay_alu instid0(VALU_DEP_4) | instskip(NEXT) | instid1(VALU_DEP_4)
	v_lshlrev_b64_e32 v[5:6], 2, v[5:6]
	v_lshlrev_b64_e32 v[7:8], 2, v[7:8]
	v_mad_co_u64_u32 v[22:23], null, s13, v125, v[14:15]
	v_mov_b32_e32 v10, v20
	v_mad_co_u64_u32 v[23:24], null, s13, v24, v[16:17]
	v_add_co_u32 v5, vcc_lo, v3, v5
	s_delay_alu instid0(VALU_DEP_3)
	v_lshlrev_b64_e32 v[9:10], 2, v[9:10]
	v_mov_b32_e32 v12, v21
	v_mad_co_u64_u32 v[17:18], null, s13, v126, v[17:18]
	s_wait_alu 0xfffd
	v_add_co_ci_u32_e32 v6, vcc_lo, v4, v6, vcc_lo
	v_add_co_u32 v7, vcc_lo, v3, v7
	s_wait_alu 0xfffd
	v_add_co_ci_u32_e32 v8, vcc_lo, v4, v8, vcc_lo
	s_mulk_i32 s13, 0xdd80
	v_lshlrev_b64_e32 v[11:12], 2, v[11:12]
	v_add_co_u32 v9, vcc_lo, v3, v9
	s_wait_alu 0xfffe
	s_sub_co_i32 s13, s13, s12
	v_mov_b32_e32 v14, v22
	s_wait_alu 0xfffd
	v_add_co_ci_u32_e32 v10, vcc_lo, v4, v10, vcc_lo
	v_add_co_u32 v0, vcc_lo, v0, s2
	v_mov_b32_e32 v20, v17
	s_wait_alu 0xfffd
	v_add_co_ci_u32_e32 v1, vcc_lo, s3, v1, vcc_lo
	v_lshlrev_b64_e32 v[13:14], 2, v[13:14]
	v_add_co_u32 v11, vcc_lo, v3, v11
	v_mov_b32_e32 v16, v23
	s_wait_alu 0xfffd
	v_add_co_ci_u32_e32 v12, vcc_lo, v4, v12, vcc_lo
	v_lshlrev_b64_e32 v[17:18], 2, v[19:20]
	v_add_co_u32 v19, vcc_lo, v0, s2
	s_wait_alu 0xfffd
	v_add_co_ci_u32_e32 v20, vcc_lo, s3, v1, vcc_lo
	v_lshlrev_b64_e32 v[15:16], 2, v[15:16]
	v_add_co_u32 v13, vcc_lo, v3, v13
	s_wait_alu 0xfffd
	v_add_co_ci_u32_e32 v14, vcc_lo, v4, v14, vcc_lo
	v_add_co_u32 v21, vcc_lo, v19, s2
	s_wait_alu 0xfffd
	v_add_co_ci_u32_e32 v22, vcc_lo, s3, v20, vcc_lo
	v_add_co_u32 v15, vcc_lo, v3, v15
	s_wait_alu 0xfffd
	v_add_co_ci_u32_e32 v16, vcc_lo, v4, v16, vcc_lo
	v_add_co_u32 v23, vcc_lo, v21, s8
	s_wait_alu 0xfffd
	v_add_co_ci_u32_e32 v24, vcc_lo, s9, v22, vcc_lo
	v_add_co_u32 v3, vcc_lo, v3, v17
	s_wait_alu 0xfffd
	v_add_co_ci_u32_e32 v4, vcc_lo, v4, v18, vcc_lo
	v_add_co_u32 v17, vcc_lo, v23, s2
	s_wait_alu 0xfffd
	v_add_co_ci_u32_e32 v18, vcc_lo, s3, v24, vcc_lo
	s_clause 0x1
	global_load_b32 v25, v[5:6], off
	global_load_b32 v26, v[0:1], off
	v_add_co_u32 v5, vcc_lo, v17, s2
	s_wait_alu 0xfffd
	v_add_co_ci_u32_e32 v6, vcc_lo, s3, v18, vcc_lo
	s_clause 0x1
	global_load_b32 v19, v[19:20], off
	global_load_b32 v20, v[3:4], off
	v_add_co_u32 v0, vcc_lo, v5, s8
	s_wait_alu 0xfffd
	v_add_co_ci_u32_e32 v1, vcc_lo, s9, v6, vcc_lo
	global_load_b32 v23, v[23:24], off
	global_load_b32 v34, v128, s[4:5] offset:768
	global_load_b32 v21, v[21:22], off
	global_load_b32 v17, v[17:18], off
	global_load_b32 v5, v[5:6], off
	global_load_b32 v6, v[0:1], off
	global_load_b32 v24, v128, s[4:5] offset:9216
	v_mad_co_u64_u32 v[3:4], null, 0xffffd900, s12, v[0:1]
	s_delay_alu instid0(VALU_DEP_1) | instskip(NEXT) | instid1(VALU_DEP_2)
	v_add_nc_u32_e32 v4, s14, v4
	v_add_co_u32 v0, vcc_lo, v3, s8
	s_wait_alu 0xfffd
	s_delay_alu instid0(VALU_DEP_2)
	v_add_co_ci_u32_e32 v1, vcc_lo, s9, v4, vcc_lo
	global_load_b32 v3, v[3:4], off
	s_wait_loadcnt 0x11
	v_lshrrev_b32_e32 v22, 16, v27
	s_clause 0x1
	scratch_store_b32 off, v27, off offset:244
	scratch_store_b32 off, v22, off offset:248
	s_wait_loadcnt 0xe
	v_lshrrev_b32_e32 v4, 16, v2
	v_mul_f16_e32 v18, v22, v2
	s_delay_alu instid0(VALU_DEP_1) | instskip(SKIP_1) | instid1(VALU_DEP_1)
	v_fma_f16 v18, v27, v4, -v18
	v_mul_f16_e32 v4, v22, v4
	v_fmac_f16_e32 v4, v27, v2
	s_delay_alu instid0(VALU_DEP_1)
	v_pack_b32_f16 v4, v4, v18
	s_wait_loadcnt 0xb
	v_lshrrev_b32_e32 v2, 16, v25
	s_wait_loadcnt 0x1
	v_lshrrev_b32_e32 v27, 16, v24
	scratch_store_b32 off, v24, off offset:184 ; 4-byte Folded Spill
	s_clause 0x3
	global_load_b32 v38, v128, s[4:5] offset:9600
	global_load_b32 v37, v128, s[4:5] offset:10752
	;; [unrolled: 1-line block ×4, first 2 shown]
	scratch_store_b32 off, v27, off offset:188 ; 4-byte Folded Spill
	s_clause 0x5
	global_load_b32 v199, v128, s[4:5] offset:4608
	global_load_b32 v42, v128, s[4:5] offset:4992
	;; [unrolled: 1-line block ×6, first 2 shown]
	v_mul_f16_e32 v22, v27, v25
	s_delay_alu instid0(VALU_DEP_1) | instskip(SKIP_1) | instid1(VALU_DEP_1)
	v_fma_f16 v22, v24, v2, -v22
	v_mul_f16_e32 v2, v27, v2
	v_fmac_f16_e32 v2, v24, v25
	v_lshrrev_b32_e32 v24, 16, v20
	s_delay_alu instid0(VALU_DEP_2) | instskip(SKIP_3) | instid1(VALU_DEP_1)
	v_pack_b32_f16 v2, v2, v22
	v_lshrrev_b32_e32 v22, 16, v21
	s_wait_loadcnt 0x5
	v_lshrrev_b32_e32 v27, 16, v199
	v_mul_f16_e32 v25, v27, v20
	s_delay_alu instid0(VALU_DEP_1) | instskip(SKIP_1) | instid1(VALU_DEP_1)
	v_fma_f16 v25, v199, v24, -v25
	v_mul_f16_e32 v24, v27, v24
	v_fmac_f16_e64 v24, v199, v20
	v_lshrrev_b32_e32 v20, 16, v26
	s_delay_alu instid0(VALU_DEP_2)
	v_pack_b32_f16 v18, v24, v25
	global_load_b32 v25, v128, s[4:5] offset:3456
	s_wait_loadcnt 0x2
	v_lshrrev_b32_e32 v28, 16, v213
	s_wait_loadcnt 0x1
	v_lshrrev_b32_e32 v36, 16, v35
	scratch_store_b32 off, v35, off offset:232 ; 4-byte Folded Spill
	v_mul_f16_e32 v27, v28, v26
	scratch_store_b32 off, v36, off offset:236 ; 4-byte Folded Spill
	v_fma_f16 v27, v213, v20, -v27
	v_mul_f16_e32 v20, v28, v20
	v_mul_f16_e32 v28, v36, v19
	s_delay_alu instid0(VALU_DEP_2) | instskip(SKIP_1) | instid1(VALU_DEP_1)
	v_fmac_f16_e64 v20, v213, v26
	v_lshrrev_b32_e32 v26, 16, v19
	v_fma_f16 v28, v35, v26, -v28
	v_mul_f16_e32 v26, v36, v26
	s_delay_alu instid0(VALU_DEP_1) | instskip(SKIP_1) | instid1(VALU_DEP_2)
	v_fmac_f16_e32 v26, v35, v19
	v_pack_b32_f16 v19, v20, v27
	v_pack_b32_f16 v20, v26, v28
	s_wait_loadcnt 0x0
	v_lshrrev_b32_e32 v26, 16, v25
	scratch_store_b32 off, v25, off offset:224 ; 4-byte Folded Spill
	s_clause 0x1
	global_load_b32 v40, v128, s[4:5] offset:3840
	global_load_b32 v35, v128, s[4:5] offset:3072
	v_mul_f16_e32 v24, v26, v21
	scratch_store_b32 off, v26, off offset:228 ; 4-byte Folded Spill
	v_fma_f16 v24, v25, v22, -v24
	v_mul_f16_e32 v22, v26, v22
	global_load_b32 v26, v128, s[4:5] offset:5760
	v_fmac_f16_e32 v22, v25, v21
	v_lshrrev_b32_e32 v21, 16, v23
	s_delay_alu instid0(VALU_DEP_2)
	v_pack_b32_f16 v22, v22, v24
	s_wait_loadcnt 0x0
	v_lshrrev_b32_e32 v27, 16, v26
	s_clause 0x1
	scratch_store_b32 off, v26, off offset:208
	scratch_store_b32 off, v27, off offset:212
	v_mul_f16_e32 v25, v27, v23
	ds_store_b32 v128, v19 offset:1152
	ds_store_b32 v128, v20 offset:2304
	v_lshrrev_b32_e32 v19, 16, v17
	v_fma_f16 v25, v26, v21, -v25
	v_mul_f16_e32 v21, v27, v21
	s_delay_alu instid0(VALU_DEP_1)
	v_fmac_f16_e32 v21, v26, v23
	global_load_b32 v23, v128, s[4:5] offset:6912
	s_wait_loadcnt 0x0
	v_lshrrev_b32_e32 v24, 16, v23
	scratch_store_b32 off, v23, off offset:200 ; 4-byte Folded Spill
	s_clause 0x1
	global_load_b32 v39, v128, s[4:5] offset:7296
	global_load_b32 v28, v128, s[4:5] offset:6528
	v_mul_f16_e32 v20, v24, v17
	scratch_store_b32 off, v24, off offset:204 ; 4-byte Folded Spill
	v_fma_f16 v20, v23, v19, -v20
	v_mul_f16_e32 v19, v24, v19
	global_load_b32 v24, v128, s[4:5] offset:8064
	v_fmac_f16_e32 v19, v23, v17
	v_pack_b32_f16 v17, v21, v25
	v_lshrrev_b32_e32 v21, 16, v5
	s_wait_loadcnt 0x0
	v_lshrrev_b32_e32 v25, 16, v24
	scratch_store_b32 off, v24, off offset:192 ; 4-byte Folded Spill
	s_clause 0x2
	global_load_b32 v36, v128, s[4:5] offset:8448
	global_load_b32 v26, v128, s[4:5] offset:8832
	;; [unrolled: 1-line block ×3, first 2 shown]
	ds_store_b32 v128, v22 offset:3456
	v_mul_f16_e32 v23, v25, v5
	scratch_store_b32 off, v25, off offset:196 ; 4-byte Folded Spill
	v_fma_f16 v23, v24, v21, -v23
	v_mul_f16_e32 v21, v25, v21
	global_load_b32 v25, v128, s[4:5] offset:10368
	v_fmac_f16_e32 v21, v24, v5
	v_lshrrev_b32_e32 v5, 16, v6
	s_wait_loadcnt 0x0
	v_lshrrev_b32_e32 v46, 16, v25
	s_clause 0x1
	scratch_store_b32 off, v25, off offset:156
	scratch_store_b32 off, v46, off offset:160
	v_mul_f16_e32 v24, v46, v6
	s_delay_alu instid0(VALU_DEP_1)
	v_fma_f16 v24, v25, v5, -v24
	v_mul_f16_e32 v5, v46, v5
	v_lshrrev_b32_e32 v46, 16, v44
	scratch_store_b32 off, v44, off offset:168 ; 4-byte Folded Spill
	v_fmac_f16_e32 v5, v25, v6
	scratch_store_b32 off, v46, off offset:172 ; 4-byte Folded Spill
	v_lshrrev_b32_e32 v6, 16, v3
	v_mul_f16_e32 v25, v46, v3
	v_pack_b32_f16 v5, v5, v24
	s_delay_alu instid0(VALU_DEP_2) | instskip(SKIP_1) | instid1(VALU_DEP_1)
	v_fma_f16 v25, v44, v6, -v25
	v_mul_f16_e32 v6, v46, v6
	v_fmac_f16_e32 v6, v44, v3
	v_pack_b32_f16 v3, v19, v20
	v_pack_b32_f16 v19, v21, v23
	v_lshrrev_b32_e32 v21, 16, v32
	v_lshrrev_b32_e32 v20, 16, v45
	v_pack_b32_f16 v6, v6, v25
	ds_store_b32 v128, v18 offset:4608
	ds_store_b32 v128, v17 offset:5760
	;; [unrolled: 1-line block ×6, first 2 shown]
	ds_store_2addr_b32 v128, v4, v6 offset1:96
	s_clause 0x1
	global_load_b32 v4, v[13:14], off
	global_load_b32 v8, v[7:8], off
	v_add_co_u32 v2, vcc_lo, v0, s2
	global_load_b32 v0, v[0:1], off
	v_lshrrev_b32_e32 v6, 16, v35
	s_wait_alu 0xfffd
	v_add_co_ci_u32_e32 v3, vcc_lo, s3, v1, vcc_lo
	v_lshrrev_b32_e32 v13, 16, v41
	v_lshrrev_b32_e32 v17, 16, v39
	s_clause 0x7
	scratch_store_b32 off, v6, off offset:64
	scratch_store_b32 off, v21, off offset:76
	;; [unrolled: 1-line block ×8, first 2 shown]
	s_wait_loadcnt 0x2
	v_lshrrev_b32_e32 v1, 16, v4
	v_mul_f16_e32 v5, v6, v4
	s_wait_loadcnt 0x1
	v_mul_f16_e32 v19, v20, v8
	s_delay_alu instid0(VALU_DEP_2) | instskip(SKIP_3) | instid1(VALU_DEP_2)
	v_fma_f16 v5, v35, v1, -v5
	v_mul_f16_e32 v1, v6, v1
	s_wait_loadcnt 0x0
	v_mul_f16_e32 v6, v13, v0
	v_fmac_f16_e32 v1, v35, v4
	v_lshrrev_b32_e32 v4, 16, v0
	s_delay_alu instid0(VALU_DEP_1) | instskip(SKIP_1) | instid1(VALU_DEP_1)
	v_fma_f16 v6, v41, v4, -v6
	v_mul_f16_e32 v4, v13, v4
	v_fmac_f16_e32 v4, v41, v0
	v_pack_b32_f16 v0, v1, v5
	s_delay_alu instid0(VALU_DEP_2)
	v_pack_b32_f16 v1, v4, v6
	v_add_nc_u32_e32 v4, 0xa00, v128
	global_load_b32 v6, v[15:16], off
	v_lshrrev_b32_e32 v16, 16, v27
	scratch_store_b32 off, v27, off offset:28 ; 4-byte Folded Spill
	ds_store_2addr_b32 v4, v1, v0 offset0:32 offset1:128
	v_add_co_u32 v0, vcc_lo, v2, s2
	scratch_store_b32 off, v16, off offset:32 ; 4-byte Folded Spill
	s_wait_alu 0xfffd
	v_add_co_ci_u32_e32 v1, vcc_lo, s3, v3, vcc_lo
	v_mov_b32_e32 v143, v4
	v_add_co_u32 v4, vcc_lo, v0, s8
	s_wait_alu 0xfffd
	s_delay_alu instid0(VALU_DEP_3) | instskip(NEXT) | instid1(VALU_DEP_2)
	v_add_co_ci_u32_e32 v5, vcc_lo, s9, v1, vcc_lo
	v_add_co_u32 v13, vcc_lo, v4, s2
	global_load_b32 v4, v[4:5], off
	s_wait_alu 0xfffd
	v_add_co_ci_u32_e32 v14, vcc_lo, s3, v5, vcc_lo
	s_wait_loadcnt 0x1
	v_lshrrev_b32_e32 v5, 16, v6
	v_mul_f16_e32 v15, v16, v6
	s_delay_alu instid0(VALU_DEP_1) | instskip(SKIP_1) | instid1(VALU_DEP_1)
	v_fma_f16 v15, v27, v5, -v15
	v_mul_f16_e32 v5, v16, v5
	v_fmac_f16_e32 v5, v27, v6
	s_wait_loadcnt 0x0
	v_lshrrev_b32_e32 v6, 16, v4
	v_mul_f16_e32 v16, v17, v4
	s_delay_alu instid0(VALU_DEP_1) | instskip(SKIP_1) | instid1(VALU_DEP_1)
	v_fma_f16 v16, v39, v6, -v16
	v_mul_f16_e32 v6, v17, v6
	v_fmac_f16_e32 v6, v39, v4
	v_pack_b32_f16 v4, v5, v15
	s_delay_alu instid0(VALU_DEP_2) | instskip(SKIP_4) | instid1(VALU_DEP_1)
	v_pack_b32_f16 v5, v6, v16
	ds_store_2addr_b32 v119, v5, v4 offset0:32 offset1:128
	v_add_co_u32 v4, vcc_lo, v13, s2
	s_wait_alu 0xfffd
	v_add_co_ci_u32_e32 v5, vcc_lo, s3, v14, vcc_lo
	v_mad_co_u64_u32 v[6:7], null, 0xffffdd80, s12, v[4:5]
	s_wait_alu 0xfffe
	s_delay_alu instid0(VALU_DEP_1) | instskip(NEXT) | instid1(VALU_DEP_2)
	v_add_nc_u32_e32 v7, s13, v7
	v_add_co_u32 v15, vcc_lo, v6, s2
	s_wait_alu 0xfffd
	s_delay_alu instid0(VALU_DEP_2) | instskip(NEXT) | instid1(VALU_DEP_2)
	v_add_co_ci_u32_e32 v16, vcc_lo, s3, v7, vcc_lo
	v_add_co_u32 v17, vcc_lo, v15, s8
	global_load_b32 v15, v[15:16], off
	s_wait_alu 0xfffd
	v_add_co_ci_u32_e32 v18, vcc_lo, s9, v16, vcc_lo
	v_lshrrev_b32_e32 v16, 16, v8
	s_delay_alu instid0(VALU_DEP_1) | instskip(SKIP_1) | instid1(VALU_DEP_1)
	v_fma_f16 v19, v45, v16, -v19
	v_mul_f16_e32 v16, v20, v16
	v_fmac_f16_e32 v16, v45, v8
	s_wait_loadcnt 0x0
	v_lshrrev_b32_e32 v8, 16, v15
	v_mul_f16_e32 v20, v21, v15
	s_delay_alu instid0(VALU_DEP_1) | instskip(SKIP_1) | instid1(VALU_DEP_1)
	v_fma_f16 v20, v32, v8, -v20
	v_mul_f16_e32 v8, v21, v8
	v_fmac_f16_e32 v8, v32, v15
	v_pack_b32_f16 v15, v16, v19
	v_lshrrev_b32_e32 v19, 16, v33
	s_delay_alu instid0(VALU_DEP_3)
	v_pack_b32_f16 v8, v8, v20
	scratch_store_b32 off, v19, off offset:56 ; 4-byte Folded Spill
	ds_store_2addr_b32 v107, v15, v8 offset0:128 offset1:224
	global_load_b32 v8, v[2:3], off
	global_load_b32 v15, v[17:18], off
	v_add_co_u32 v2, vcc_lo, v17, s2
	s_wait_alu 0xfffd
	v_add_co_ci_u32_e32 v3, vcc_lo, s3, v18, vcc_lo
	v_lshrrev_b32_e32 v18, 16, v40
	s_clause 0x1
	scratch_store_b32 off, v40, off offset:140
	scratch_store_b32 off, v18, off offset:144
	s_wait_loadcnt 0x1
	v_lshrrev_b32_e32 v16, 16, v8
	v_mul_f16_e32 v17, v18, v8
	s_delay_alu instid0(VALU_DEP_1) | instskip(SKIP_3) | instid1(VALU_DEP_2)
	v_fma_f16 v17, v40, v16, -v17
	v_mul_f16_e32 v16, v18, v16
	s_wait_loadcnt 0x0
	v_mul_f16_e32 v18, v19, v15
	v_fmac_f16_e32 v16, v40, v8
	v_lshrrev_b32_e32 v8, 16, v15
	s_delay_alu instid0(VALU_DEP_1) | instskip(SKIP_1) | instid1(VALU_DEP_1)
	v_fma_f16 v18, v33, v8, -v18
	v_mul_f16_e32 v8, v19, v8
	v_fmac_f16_e32 v8, v33, v15
	v_pack_b32_f16 v15, v16, v17
	v_lshrrev_b32_e32 v16, 16, v42
	v_lshrrev_b32_e32 v17, 16, v31
	scratch_store_b32 off, v42, off offset:148 ; 4-byte Folded Spill
	v_pack_b32_f16 v8, v8, v18
	s_clause 0x3
	scratch_store_b32 off, v45, off offset:164
	scratch_store_b32 off, v16, off offset:152
	;; [unrolled: 1-line block ×4, first 2 shown]
	ds_store_2addr_b32 v98, v15, v8 offset0:64 offset1:160
	global_load_b32 v8, v[0:1], off
	v_add_co_u32 v0, vcc_lo, v2, s2
	global_load_b32 v2, v[2:3], off
	s_wait_alu 0xfffd
	v_add_co_ci_u32_e32 v1, vcc_lo, s3, v3, vcc_lo
	s_clause 0x1
	scratch_store_b32 off, v33, off offset:52
	scratch_store_b32 off, v35, off offset:60
	s_wait_loadcnt 0x1
	v_lshrrev_b32_e32 v3, 16, v8
	v_mul_f16_e32 v15, v16, v8
	s_delay_alu instid0(VALU_DEP_1) | instskip(SKIP_3) | instid1(VALU_DEP_2)
	v_fma_f16 v15, v42, v3, -v15
	v_mul_f16_e32 v3, v16, v3
	s_wait_loadcnt 0x0
	v_mul_f16_e32 v16, v17, v2
	v_fmac_f16_e32 v3, v42, v8
	v_lshrrev_b32_e32 v8, 16, v2
	s_delay_alu instid0(VALU_DEP_1) | instskip(SKIP_1) | instid1(VALU_DEP_1)
	v_fma_f16 v16, v31, v8, -v16
	v_mul_f16_e32 v8, v17, v8
	v_fmac_f16_e32 v8, v31, v2
	v_pack_b32_f16 v2, v3, v15
	s_delay_alu instid0(VALU_DEP_2)
	v_pack_b32_f16 v3, v8, v16
	v_add_nc_u32_e32 v8, 0x1200, v128
	ds_store_2addr_b32 v8, v2, v3 offset0:96 offset1:192
	v_mov_b32_e32 v130, v8
	global_load_b32 v8, v[9:10], off
	v_add_co_u32 v2, vcc_lo, v0, s8
	global_load_b32 v0, v[0:1], off
	global_load_b32 v10, v128, s[4:5] offset:6144
	s_wait_alu 0xfffd
	v_add_co_ci_u32_e32 v3, vcc_lo, s9, v1, vcc_lo
	global_load_b32 v4, v[4:5], off
	s_clause 0x1
	scratch_store_b32 off, v36, off offset:104
	scratch_store_b32 off, v38, off offset:112
	s_wait_loadcnt 0x3
	v_lshrrev_b32_e32 v1, 16, v8
	s_wait_loadcnt 0x1
	v_lshrrev_b32_e32 v15, 16, v10
	s_clause 0x1
	scratch_store_b32 off, v10, off offset:124
	scratch_store_b32 off, v15, off offset:128
	v_mul_f16_e32 v9, v15, v8
	s_delay_alu instid0(VALU_DEP_1) | instskip(SKIP_2) | instid1(VALU_DEP_2)
	v_fma_f16 v9, v10, v1, -v9
	v_mul_f16_e32 v1, v15, v1
	v_lshrrev_b32_e32 v15, 16, v28
	v_fmac_f16_e32 v1, v10, v8
	v_lshrrev_b32_e32 v8, 16, v0
	s_delay_alu instid0(VALU_DEP_3) | instskip(SKIP_3) | instid1(VALU_DEP_1)
	v_mul_f16_e32 v10, v15, v0
	scratch_store_b32 off, v15, off offset:40 ; 4-byte Folded Spill
	v_fma_f16 v10, v28, v8, -v10
	v_mul_f16_e32 v8, v15, v8
	v_fmac_f16_e32 v8, v28, v0
	v_pack_b32_f16 v0, v1, v9
	s_delay_alu instid0(VALU_DEP_2)
	v_pack_b32_f16 v1, v8, v10
	global_load_b32 v8, v[13:14], off
	v_lshrrev_b32_e32 v10, 16, v36
	v_lshrrev_b32_e32 v13, 16, v26
	ds_store_2addr_b32 v95, v0, v1 offset1:96
	v_add_co_u32 v0, vcc_lo, v2, s2
	global_load_b32 v2, v[2:3], off
	s_wait_alu 0xfffd
	v_add_co_ci_u32_e32 v1, vcc_lo, s3, v3, vcc_lo
	s_clause 0x1
	scratch_store_b32 off, v10, off offset:108
	scratch_store_b32 off, v13, off offset:24
	s_wait_loadcnt 0x1
	v_lshrrev_b32_e32 v3, 16, v8
	v_mul_f16_e32 v9, v10, v8
	s_delay_alu instid0(VALU_DEP_1) | instskip(SKIP_3) | instid1(VALU_DEP_2)
	v_fma_f16 v9, v36, v3, -v9
	v_mul_f16_e32 v3, v10, v3
	s_wait_loadcnt 0x0
	v_mul_f16_e32 v10, v13, v2
	v_fmac_f16_e32 v3, v36, v8
	v_lshrrev_b32_e32 v8, 16, v2
	s_delay_alu instid0(VALU_DEP_1) | instskip(SKIP_1) | instid1(VALU_DEP_1)
	v_fma_f16 v10, v26, v8, -v10
	v_mul_f16_e32 v8, v13, v8
	v_fmac_f16_e32 v8, v26, v2
	v_pack_b32_f16 v2, v3, v9
	v_lshrrev_b32_e32 v9, 16, v30
	s_clause 0x1
	scratch_store_b32 off, v30, off offset:12
	scratch_store_b32 off, v26, off offset:20
	v_pack_b32_f16 v3, v8, v10
	v_lshrrev_b32_e32 v8, 16, v38
	s_clause 0x1
	scratch_store_b32 off, v28, off offset:36
	scratch_store_b32 off, v9, off offset:16
	ds_store_2addr_b32 v87, v2, v3 offset0:64 offset1:160
	v_add_co_u32 v2, vcc_lo, v0, s2
	global_load_b32 v0, v[0:1], off
	s_wait_alu 0xfffd
	v_add_co_ci_u32_e32 v3, vcc_lo, s3, v1, vcc_lo
	v_lshrrev_b32_e32 v1, 16, v4
	v_mul_f16_e32 v5, v8, v4
	scratch_store_b32 off, v8, off offset:116 ; 4-byte Folded Spill
	v_cmp_gt_u16_e32 vcc_lo, 60, v43
	v_add_nc_u32_e32 v85, 0x2800, v128
	v_fma_f16 v5, v38, v1, -v5
	v_mul_f16_e32 v1, v8, v1
	s_delay_alu instid0(VALU_DEP_1) | instskip(SKIP_3) | instid1(VALU_DEP_1)
	v_fmac_f16_e32 v1, v38, v4
	s_wait_loadcnt 0x0
	v_lshrrev_b32_e32 v4, 16, v0
	v_mul_f16_e32 v8, v9, v0
	v_fma_f16 v8, v30, v4, -v8
	v_mul_f16_e32 v4, v9, v4
	s_delay_alu instid0(VALU_DEP_1) | instskip(SKIP_2) | instid1(VALU_DEP_3)
	v_fmac_f16_e32 v4, v30, v0
	v_pack_b32_f16 v0, v1, v5
	v_lshrrev_b32_e32 v5, 16, v29
	v_pack_b32_f16 v1, v4, v8
	v_lshrrev_b32_e32 v4, 16, v37
	ds_store_2addr_b32 v118, v0, v1 offset0:96 offset1:192
	global_load_b32 v0, v[11:12], off
	global_load_b32 v1, v[2:3], off
	s_clause 0x2
	scratch_store_b32 off, v4, off offset:92
	scratch_store_b32 off, v29, off offset:4
	;; [unrolled: 1-line block ×3, first 2 shown]
	s_load_b128 s[8:11], s[10:11], 0x0
	s_wait_kmcnt 0x0
	s_mul_u64 s[12:13], s[8:9], 0x480
	s_mul_u64 s[14:15], s[8:9], 0x900
	s_wait_loadcnt 0x1
	v_lshrrev_b32_e32 v2, 16, v0
	v_mul_f16_e32 v3, v4, v0
	s_delay_alu instid0(VALU_DEP_1) | instskip(SKIP_3) | instid1(VALU_DEP_2)
	v_fma_f16 v3, v37, v2, -v3
	v_mul_f16_e32 v2, v4, v2
	s_wait_loadcnt 0x0
	v_mul_f16_e32 v4, v5, v1
	v_fmac_f16_e32 v2, v37, v0
	v_lshrrev_b32_e32 v0, 16, v1
	s_delay_alu instid0(VALU_DEP_1) | instskip(SKIP_1) | instid1(VALU_DEP_1)
	v_fma_f16 v4, v29, v0, -v4
	v_mul_f16_e32 v0, v5, v0
	v_fmac_f16_e32 v0, v29, v1
	v_pack_b32_f16 v1, v2, v3
	v_lshrrev_b32_e32 v3, 16, v34
	s_clause 0x1
	scratch_store_b32 off, v34, off offset:80
	scratch_store_b32 off, v37, off offset:88
	v_pack_b32_f16 v0, v0, v4
	scratch_store_b32 off, v3, off offset:84 ; 4-byte Folded Spill
	ds_store_2addr_b32 v85, v1, v0 offset0:128 offset1:224
	global_load_b32 v0, v[6:7], off
	s_wait_loadcnt 0x0
	v_lshrrev_b32_e32 v1, 16, v0
	v_mul_f16_e32 v2, v3, v0
	s_delay_alu instid0(VALU_DEP_1) | instskip(SKIP_1) | instid1(VALU_DEP_1)
	v_fma_f16 v2, v34, v1, -v2
	v_mul_f16_e32 v1, v3, v1
	v_fmac_f16_e32 v1, v34, v0
	s_delay_alu instid0(VALU_DEP_1)
	v_pack_b32_f16 v0, v1, v2
	ds_store_b32 v128, v0 offset:768
	global_wb scope:SCOPE_SE
	s_wait_storecnt_dscnt 0x0
	s_barrier_signal -1
	s_barrier_wait -1
	global_inv scope:SCOPE_SE
	ds_load_2addr_b32 v[12:13], v191 offset0:64 offset1:160
	ds_load_2addr_b32 v[14:15], v129 offset0:128 offset1:224
	;; [unrolled: 1-line block ×3, first 2 shown]
	ds_load_2addr_b32 v[16:17], v118 offset1:96
	ds_load_2addr_b32 v[4:5], v135 offset1:96
	ds_load_2addr_b32 v[2:3], v127 offset0:64 offset1:160
	ds_load_2addr_b32 v[8:9], v119 offset0:128 offset1:224
	;; [unrolled: 1-line block ×3, first 2 shown]
	ds_load_2addr_b32 v[10:11], v128 offset1:96
	s_wait_dscnt 0x8
	v_lshrrev_b32_e32 v38, 16, v12
	s_wait_dscnt 0x7
	v_sub_f16_e32 v0, v14, v12
	s_wait_dscnt 0x5
	v_sub_f16_e32 v1, v18, v16
	v_lshrrev_b32_e32 v34, 16, v14
	v_lshrrev_b32_e32 v33, 16, v18
	s_wait_dscnt 0x0
	v_lshrrev_b32_e32 v20, 16, v10
	v_lshrrev_b32_e32 v36, 16, v16
	v_add_f16_e32 v27, v0, v1
	v_sub_f16_e32 v0, v3, v5
	v_sub_f16_e32 v1, v9, v7
	v_add_f16_e32 v41, v20, v38
	v_lshrrev_b32_e32 v39, 16, v3
	v_lshrrev_b32_e32 v37, 16, v9
	;; [unrolled: 1-line block ×3, first 2 shown]
	v_add_f16_e32 v28, v0, v1
	v_add_f16_e32 v0, v34, v33
	v_sub_f16_e32 v1, v33, v36
	v_lshrrev_b32_e32 v44, 16, v7
	v_add_f16_e32 v22, v39, v37
	v_sub_f16_e32 v25, v38, v36
	v_fma_f16 v21, -0.5, v0, v20
	v_add_f16_e32 v0, v38, v36
	v_add_f16_e32 v23, v45, v44
	v_sub_f16_e32 v24, v37, v44
	v_sub_f16_e32 v29, v45, v44
	;; [unrolled: 1-line block ×3, first 2 shown]
	v_fmac_f16_e32 v20, -0.5, v0
	v_sub_f16_e32 v0, v34, v38
	v_sub_f16_e32 v40, v5, v7
	v_add_f16_e32 v41, v41, v34
	v_sub_f16_e32 v52, v16, v18
	s_delay_alu instid0(VALU_DEP_4) | instskip(SKIP_3) | instid1(VALU_DEP_1)
	v_add_f16_e32 v31, v0, v1
	ds_load_2addr_b32 v[0:1], v137 offset0:64 offset1:160
	s_wait_dscnt 0x0
	v_lshrrev_b32_e32 v42, 16, v1
	v_fma_f16 v22, -0.5, v22, v42
	v_add_f16_e32 v46, v42, v45
	v_fmac_f16_e32 v42, -0.5, v23
	v_sub_f16_e32 v23, v39, v45
	s_delay_alu instid0(VALU_DEP_1)
	v_add_f16_e32 v32, v23, v24
	v_add_f16_e32 v23, v12, v16
	v_sub_f16_e32 v24, v34, v33
	v_sub_f16_e32 v34, v38, v34
	v_add_f16_e32 v38, v41, v33
	v_sub_f16_e32 v33, v36, v33
	v_fma_f16 v23, -0.5, v23, v10
	s_delay_alu instid0(VALU_DEP_3) | instskip(NEXT) | instid1(VALU_DEP_3)
	v_add_f16_e32 v38, v38, v36
	v_add_f16_e32 v41, v34, v33
	s_delay_alu instid0(VALU_DEP_3)
	v_fmamk_f16 v26, v24, 0xbb9c, v23
	v_fmac_f16_e32 v23, 0x3b9c, v24
	v_sub_f16_e32 v33, v5, v3
	v_sub_f16_e32 v34, v7, v9
	;; [unrolled: 1-line block ×3, first 2 shown]
	v_fmac_f16_e32 v26, 0x38b4, v25
	v_fmac_f16_e32 v23, 0xb8b4, v25
	s_delay_alu instid0(VALU_DEP_2) | instskip(NEXT) | instid1(VALU_DEP_2)
	v_fmac_f16_e32 v26, 0x34f2, v27
	v_fmac_f16_e32 v23, 0x34f2, v27
	v_add_f16_e32 v27, v5, v7
	s_delay_alu instid0(VALU_DEP_1) | instskip(SKIP_1) | instid1(VALU_DEP_1)
	v_fma_f16 v47, -0.5, v27, v1
	v_sub_f16_e32 v27, v39, v37
	v_fmamk_f16 v49, v27, 0xbb9c, v47
	v_fmac_f16_e32 v47, 0x3b9c, v27
	s_delay_alu instid0(VALU_DEP_2) | instskip(NEXT) | instid1(VALU_DEP_2)
	v_fmac_f16_e32 v49, 0x38b4, v29
	v_fmac_f16_e32 v47, 0xb8b4, v29
	s_delay_alu instid0(VALU_DEP_2) | instskip(NEXT) | instid1(VALU_DEP_2)
	v_fmac_f16_e32 v49, 0x34f2, v28
	v_fmac_f16_e32 v47, 0x34f2, v28
	v_sub_f16_e32 v28, v14, v18
	s_delay_alu instid0(VALU_DEP_1) | instskip(SKIP_1) | instid1(VALU_DEP_2)
	v_fmamk_f16 v35, v28, 0x3b9c, v20
	v_fmac_f16_e32 v20, 0xbb9c, v28
	v_fmac_f16_e32 v35, 0xb8b4, v30
	s_delay_alu instid0(VALU_DEP_2) | instskip(NEXT) | instid1(VALU_DEP_2)
	v_fmac_f16_e32 v20, 0x38b4, v30
	v_fmac_f16_e32 v35, 0x34f2, v31
	s_delay_alu instid0(VALU_DEP_2) | instskip(SKIP_1) | instid1(VALU_DEP_1)
	v_fmac_f16_e32 v20, 0x34f2, v31
	v_sub_f16_e32 v31, v3, v9
	v_fmamk_f16 v48, v31, 0x3b9c, v42
	v_fmac_f16_e32 v42, 0xbb9c, v31
	s_delay_alu instid0(VALU_DEP_2) | instskip(NEXT) | instid1(VALU_DEP_2)
	v_fmac_f16_e32 v48, 0xb8b4, v40
	v_fmac_f16_e32 v42, 0x38b4, v40
	s_delay_alu instid0(VALU_DEP_2) | instskip(NEXT) | instid1(VALU_DEP_2)
	v_fmac_f16_e32 v48, 0x34f2, v32
	v_fmac_f16_e32 v42, 0x34f2, v32
	v_mul_f16_e32 v32, 0xb4f2, v47
	s_delay_alu instid0(VALU_DEP_1) | instskip(SKIP_1) | instid1(VALU_DEP_1)
	v_fmac_f16_e32 v32, 0x3b9c, v42
	v_mul_f16_e32 v42, 0xb4f2, v42
	v_fmac_f16_e32 v42, 0xbb9c, v47
	v_mul_f16_e32 v47, 0xbb9c, v49
	s_delay_alu instid0(VALU_DEP_2) | instskip(NEXT) | instid1(VALU_DEP_2)
	v_add_f16_e32 v50, v20, v42
	v_fmac_f16_e32 v47, 0x34f2, v48
	v_mul_f16_e32 v48, 0x3b9c, v48
	s_delay_alu instid0(VALU_DEP_1) | instskip(SKIP_1) | instid1(VALU_DEP_2)
	v_fmac_f16_e32 v48, 0x34f2, v49
	v_add_f16_e32 v49, v23, v32
	v_add_f16_e32 v51, v26, v48
	s_delay_alu instid0(VALU_DEP_2) | instskip(SKIP_1) | instid1(VALU_DEP_1)
	v_pack_b32_f16 v50, v49, v50
	v_add_f16_e32 v49, v35, v47
	v_pack_b32_f16 v49, v51, v49
	v_sub_f16_e32 v51, v12, v14
	s_delay_alu instid0(VALU_DEP_1) | instskip(SKIP_3) | instid1(VALU_DEP_2)
	v_add_f16_e32 v51, v51, v52
	v_add_f16_e32 v52, v33, v34
	;; [unrolled: 1-line block ×3, first 2 shown]
	v_sub_f16_e32 v34, v45, v39
	v_add_f16_e32 v33, v33, v37
	s_delay_alu instid0(VALU_DEP_2) | instskip(SKIP_2) | instid1(VALU_DEP_4)
	v_add_f16_e32 v37, v34, v36
	v_fmamk_f16 v34, v40, 0xbb9c, v22
	v_fmac_f16_e32 v22, 0x3b9c, v40
	v_add_f16_e32 v39, v33, v44
	v_add_f16_e32 v33, v3, v9
	s_delay_alu instid0(VALU_DEP_4) | instskip(NEXT) | instid1(VALU_DEP_4)
	v_fmac_f16_e32 v34, 0xb8b4, v31
	v_fmac_f16_e32 v22, 0x38b4, v31
	s_delay_alu instid0(VALU_DEP_3) | instskip(SKIP_1) | instid1(VALU_DEP_4)
	v_fma_f16 v44, -0.5, v33, v1
	v_add_f16_e32 v1, v1, v5
	v_fmac_f16_e32 v34, 0x34f2, v37
	s_delay_alu instid0(VALU_DEP_4) | instskip(NEXT) | instid1(VALU_DEP_4)
	v_fmac_f16_e32 v22, 0x34f2, v37
	v_fmamk_f16 v33, v29, 0x3b9c, v44
	s_delay_alu instid0(VALU_DEP_4)
	v_add_f16_e32 v1, v1, v3
	v_fmamk_f16 v3, v30, 0xbb9c, v21
	v_fmac_f16_e32 v44, 0xbb9c, v29
	v_fmac_f16_e32 v21, 0x3b9c, v30
	;; [unrolled: 1-line block ×3, first 2 shown]
	v_add_f16_e32 v1, v1, v9
	v_fmac_f16_e32 v3, 0xb8b4, v28
	v_fmac_f16_e32 v44, 0xb8b4, v27
	v_fmac_f16_e32 v21, 0x38b4, v28
	v_fmac_f16_e32 v33, 0x34f2, v52
	v_add_f16_e32 v1, v1, v7
	v_fmac_f16_e32 v3, 0x34f2, v41
	v_fmac_f16_e32 v44, 0x34f2, v52
	;; [unrolled: 1-line block ×3, first 2 shown]
	v_mul_f16_e32 v36, 0x3a79, v33
	v_mul_f16_e32 v45, 0xb8b4, v33
	v_add_f16_e32 v33, v14, v18
	s_delay_alu instid0(VALU_DEP_3) | instskip(NEXT) | instid1(VALU_DEP_3)
	v_fmac_f16_e32 v36, 0x38b4, v34
	v_fmac_f16_e32 v45, 0x3a79, v34
	s_delay_alu instid0(VALU_DEP_3) | instskip(SKIP_1) | instid1(VALU_DEP_3)
	v_fma_f16 v46, -0.5, v33, v10
	v_add_f16_e32 v10, v10, v12
	v_add_f16_e32 v9, v3, v45
	s_delay_alu instid0(VALU_DEP_3) | instskip(NEXT) | instid1(VALU_DEP_3)
	v_fmamk_f16 v12, v25, 0x3b9c, v46
	v_add_f16_e32 v10, v10, v14
	v_sub_f16_e32 v3, v3, v45
	v_fmac_f16_e32 v46, 0xbb9c, v25
	v_lshrrev_b32_e32 v14, 16, v19
	v_fmac_f16_e32 v12, 0x38b4, v24
	v_add_f16_e32 v5, v10, v18
	v_sub_f16_e32 v10, v35, v47
	v_fmac_f16_e32 v46, 0xb8b4, v24
	v_sub_f16_e32 v18, v15, v19
	v_fmac_f16_e32 v12, 0x34f2, v51
	v_add_f16_e32 v5, v5, v16
	v_sub_f16_e32 v16, v19, v17
	v_fmac_f16_e32 v46, 0x34f2, v51
	s_delay_alu instid0(VALU_DEP_4) | instskip(NEXT) | instid1(VALU_DEP_1)
	v_add_f16_e32 v7, v12, v36
	v_pack_b32_f16 v34, v7, v9
	v_add_f16_e32 v7, v5, v1
	v_add_f16_e32 v9, v38, v39
	v_sub_f16_e32 v1, v5, v1
	v_sub_f16_e32 v5, v38, v39
	s_delay_alu instid0(VALU_DEP_3) | instskip(SKIP_1) | instid1(VALU_DEP_3)
	v_pack_b32_f16 v33, v7, v9
	v_sub_f16_e32 v7, v12, v36
	v_pack_b32_f16 v25, v1, v5
	v_mul_lo_u16 v1, v43, 10
	v_sub_f16_e32 v9, v26, v48
	v_sub_f16_e32 v12, v15, v13
	v_pack_b32_f16 v35, v7, v3
	v_mul_f16_e32 v7, 0xba79, v22
	v_mul_f16_e32 v3, 0xba79, v44
	v_and_b32_e32 v1, 0xffff, v1
	v_pack_b32_f16 v36, v9, v10
	v_add_f16_e32 v12, v12, v16
	v_fmac_f16_e32 v7, 0xb8b4, v44
	v_fmac_f16_e32 v3, 0x38b4, v22
	v_lshlrev_b32_e32 v142, 2, v1
	v_sub_f16_e32 v1, v23, v32
	v_lshrrev_b32_e32 v22, 16, v11
	v_add_f16_e32 v10, v21, v7
	v_sub_f16_e32 v5, v21, v7
	v_sub_f16_e32 v7, v20, v42
	v_add_f16_e32 v9, v46, v3
	v_sub_f16_e32 v3, v46, v3
	s_delay_alu instid0(VALU_DEP_3) | instskip(SKIP_1) | instid1(VALU_DEP_3)
	v_pack_b32_f16 v20, v1, v7
	v_add_f16_e32 v1, v11, v13
	v_pack_b32_f16 v21, v3, v5
	v_pack_b32_f16 v24, v9, v10
	ds_load_2addr_b32 v[9:10], v107 offset0:128 offset1:224
	ds_load_2addr_b32 v[26:27], v98 offset0:64 offset1:160
	ds_load_2addr_b32 v[28:29], v95 offset1:96
	ds_load_2addr_b32 v[30:31], v87 offset0:64 offset1:160
	ds_load_2addr_b32 v[37:38], v85 offset0:128 offset1:224
	global_wb scope:SCOPE_SE
	s_wait_dscnt 0x0
	v_add_f16_e32 v1, v1, v15
	s_barrier_signal -1
	s_barrier_wait -1
	global_inv scope:SCOPE_SE
	ds_store_2addr_b64 v142, v[33:34], v[49:50] offset1:1
	ds_store_2addr_b64 v142, v[24:25], v[35:36] offset0:2 offset1:3
	ds_store_b64 v142, v[20:21] offset:32
	v_lshrrev_b32_e32 v3, 16, v15
	v_add_f16_e32 v5, v15, v19
	v_add_f16_e32 v1, v1, v19
	;; [unrolled: 1-line block ×3, first 2 shown]
	v_sub_f16_e32 v7, v13, v15
	v_sub_f16_e32 v15, v17, v19
	v_lshrrev_b32_e32 v19, 16, v13
	v_sub_f16_e32 v21, v13, v17
	v_add_f16_e32 v1, v1, v17
	v_lshrrev_b32_e32 v17, 16, v17
	v_fma_f16 v5, -0.5, v5, v11
	v_fmac_f16_e32 v11, -0.5, v20
	v_sub_f16_e32 v20, v3, v14
	v_add_f16_e32 v24, v22, v19
	v_sub_f16_e32 v23, v19, v17
	v_sub_f16_e32 v13, v14, v17
	v_lshrrev_b32_e32 v33, 16, v28
	v_fmamk_f16 v16, v20, 0xbb9c, v11
	v_fmac_f16_e32 v11, 0x3b9c, v20
	v_lshrrev_b32_e32 v34, 16, v30
	v_lshrrev_b32_e32 v36, 16, v26
	;; [unrolled: 1-line block ×3, first 2 shown]
	v_fmac_f16_e32 v16, 0x38b4, v23
	v_fmac_f16_e32 v11, 0xb8b4, v23
	v_add_f16_e32 v7, v7, v15
	v_add_f16_e32 v15, v24, v3
	v_add_f16_e32 v35, v33, v34
	v_fmac_f16_e32 v16, 0x34f2, v12
	v_fmac_f16_e32 v11, 0x34f2, v12
	v_add_f16_e32 v12, v3, v14
	v_add_f16_e32 v40, v36, v39
	;; [unrolled: 1-line block ×3, first 2 shown]
	v_sub_f16_e32 v14, v17, v14
	v_sub_f16_e32 v42, v33, v34
	v_fma_f16 v25, -0.5, v12, v22
	v_add_f16_e32 v12, v19, v17
	v_sub_f16_e32 v45, v36, v39
	v_sub_f16_e32 v46, v34, v39
	;; [unrolled: 1-line block ×3, first 2 shown]
	s_delay_alu instid0(VALU_DEP_4)
	v_fmac_f16_e32 v22, -0.5, v12
	v_sub_f16_e32 v12, v3, v19
	v_sub_f16_e32 v3, v19, v3
	v_add_f16_e32 v19, v15, v17
	v_sub_f16_e32 v15, v37, v30
	v_fmamk_f16 v32, v18, 0x3b9c, v22
	v_fmac_f16_e32 v22, 0xbb9c, v18
	v_add_f16_e32 v12, v12, v13
	v_sub_f16_e32 v13, v30, v37
	v_add_f16_e32 v3, v3, v14
	v_fmac_f16_e32 v32, 0xb8b4, v21
	v_fmac_f16_e32 v22, 0x38b4, v21
	v_sub_f16_e32 v14, v26, v28
	v_sub_f16_e32 v17, v39, v34
	s_delay_alu instid0(VALU_DEP_4) | instskip(NEXT) | instid1(VALU_DEP_4)
	v_fmac_f16_e32 v32, 0x34f2, v12
	v_fmac_f16_e32 v22, 0x34f2, v12
	v_sub_f16_e32 v12, v28, v26
	v_add_f16_e32 v24, v14, v15
	v_sub_f16_e32 v15, v36, v33
	s_delay_alu instid0(VALU_DEP_3) | instskip(SKIP_1) | instid1(VALU_DEP_1)
	v_add_f16_e32 v12, v12, v13
	v_lshrrev_b32_e32 v13, 16, v9
	v_fma_f16 v35, -0.5, v35, v13
	v_add_f16_e32 v41, v13, v36
	v_fmac_f16_e32 v13, -0.5, v40
	v_add_f16_e32 v40, v26, v37
	s_delay_alu instid0(VALU_DEP_3) | instskip(SKIP_1) | instid1(VALU_DEP_3)
	v_add_f16_e32 v14, v41, v33
	v_fmamk_f16 v41, v23, 0x3b9c, v5
	v_fma_f16 v40, -0.5, v40, v9
	v_fmac_f16_e32 v5, 0xbb9c, v23
	v_lshrrev_b32_e32 v23, 16, v27
	v_add_f16_e32 v14, v14, v34
	v_fmac_f16_e32 v41, 0x38b4, v20
	v_fmamk_f16 v44, v42, 0xbb9c, v40
	v_fmac_f16_e32 v40, 0x3b9c, v42
	v_fmac_f16_e32 v5, 0xb8b4, v20
	v_add_f16_e32 v34, v14, v39
	v_add_f16_e32 v14, v28, v30
	v_fmac_f16_e32 v44, 0x38b4, v45
	v_fmac_f16_e32 v40, 0xb8b4, v45
	;; [unrolled: 1-line block ×4, first 2 shown]
	v_lshrrev_b32_e32 v20, 16, v31
	v_fmac_f16_e32 v44, 0x34f2, v12
	v_fmac_f16_e32 v40, 0x34f2, v12
	v_sub_f16_e32 v12, v33, v36
	v_fma_f16 v36, -0.5, v14, v9
	v_add_f16_e32 v33, v15, v17
	v_fmamk_f16 v15, v48, 0xbb9c, v35
	v_fmac_f16_e32 v35, 0x3b9c, v48
	v_add_f16_e32 v12, v12, v46
	v_sub_f16_e32 v46, v28, v30
	v_fmamk_f16 v14, v45, 0x3b9c, v36
	v_fmac_f16_e32 v36, 0xbb9c, v45
	v_add_f16_e32 v9, v9, v26
	v_fmamk_f16 v26, v21, 0xbb9c, v25
	v_fmamk_f16 v47, v46, 0x3b9c, v13
	v_fmac_f16_e32 v13, 0xbb9c, v46
	v_fmac_f16_e32 v14, 0x38b4, v42
	;; [unrolled: 1-line block ×11, first 2 shown]
	v_mul_f16_e32 v17, 0x3a79, v14
	v_mul_f16_e32 v39, 0xb8b4, v14
	v_add_f16_e32 v9, v9, v28
	v_fmac_f16_e32 v26, 0xb8b4, v18
	v_fmac_f16_e32 v25, 0x38b4, v18
	;; [unrolled: 1-line block ×5, first 2 shown]
	v_mul_f16_e32 v50, 0xb4f2, v13
	v_fmac_f16_e32 v17, 0x38b4, v15
	v_fmac_f16_e32 v39, 0x3a79, v15
	v_add_f16_e32 v9, v9, v30
	v_fmac_f16_e32 v26, 0x34f2, v3
	v_fmac_f16_e32 v25, 0x34f2, v3
	v_mul_f16_e32 v3, 0xba79, v36
	v_mul_f16_e32 v7, 0xba79, v35
	;; [unrolled: 1-line block ×3, first 2 shown]
	v_fmac_f16_e32 v50, 0xbb9c, v40
	v_mul_f16_e32 v40, 0x3b9c, v47
	v_add_f16_e32 v9, v9, v37
	v_add_f16_e32 v14, v41, v17
	;; [unrolled: 1-line block ×3, first 2 shown]
	v_fmac_f16_e32 v3, 0x38b4, v35
	v_fmac_f16_e32 v7, 0xb8b4, v36
	;; [unrolled: 1-line block ×4, first 2 shown]
	v_mul_f16_e32 v44, 0xbb9c, v44
	v_pack_b32_f16 v15, v14, v15
	v_add_f16_e32 v14, v1, v9
	v_add_f16_e32 v28, v19, v34
	v_sub_f16_e32 v1, v1, v9
	v_sub_f16_e32 v9, v19, v34
	v_add_f16_e32 v18, v5, v3
	v_add_f16_e32 v19, v25, v7
	v_add_co_u32 v24, null, 0x60, v123
	v_fmac_f16_e32 v44, 0x34f2, v47
	v_add_f16_e32 v12, v11, v49
	v_add_f16_e32 v13, v22, v50
	v_pack_b32_f16 v18, v18, v19
	v_pack_b32_f16 v19, v1, v9
	v_mul_u32_u24_e32 v1, 10, v24
	v_add_f16_e32 v47, v32, v44
	v_pack_b32_f16 v13, v12, v13
	v_add_f16_e32 v12, v16, v40
	v_sub_f16_e32 v3, v5, v3
	v_lshlrev_b32_e32 v149, 2, v1
	v_sub_f16_e32 v1, v11, v49
	v_sub_f16_e32 v5, v25, v7
	;; [unrolled: 1-line block ×3, first 2 shown]
	v_pack_b32_f16 v14, v14, v28
	v_sub_f16_e32 v17, v41, v17
	v_sub_f16_e32 v28, v16, v40
	;; [unrolled: 1-line block ×4, first 2 shown]
	v_pack_b32_f16 v12, v12, v47
	v_pack_b32_f16 v11, v1, v7
	v_add_f16_e32 v1, v0, v4
	v_pack_b32_f16 v16, v17, v16
	v_pack_b32_f16 v17, v28, v26
	ds_store_2addr_b64 v149, v[14:15], v[12:13] offset1:1
	ds_store_2addr_b64 v149, v[18:19], v[16:17] offset0:2 offset1:3
	v_pack_b32_f16 v12, v3, v5
	v_add_f16_e32 v1, v1, v2
	v_lshrrev_b32_e32 v3, 16, v4
	v_sub_f16_e32 v5, v4, v2
	v_add_f16_e32 v7, v4, v6
	ds_store_b64 v149, v[11:12] offset:32
	v_sub_f16_e32 v9, v2, v4
	v_sub_f16_e32 v11, v4, v6
	v_lshrrev_b32_e32 v4, 16, v2
	v_add_f16_e32 v12, v2, v8
	v_sub_f16_e32 v13, v2, v8
	v_add_f16_e32 v1, v1, v8
	v_sub_f16_e32 v2, v8, v6
	v_lshrrev_b32_e32 v14, 16, v8
	v_sub_f16_e32 v15, v6, v8
	v_fma_f16 v12, -0.5, v12, v0
	v_add_f16_e32 v8, v1, v6
	v_add_f16_e32 v1, v9, v2
	;; [unrolled: 1-line block ×3, first 2 shown]
	v_lshrrev_b32_e32 v6, 16, v6
	v_lshrrev_b32_e32 v16, 16, v0
	v_fmac_f16_e32 v0, -0.5, v7
	v_add_f16_e32 v9, v29, v31
	v_add_f16_e32 v2, v2, v29
	v_sub_f16_e32 v17, v27, v29
	v_sub_f16_e32 v18, v29, v27
	;; [unrolled: 1-line block ×4, first 2 shown]
	v_add_f16_e32 v2, v2, v31
	v_sub_f16_e32 v22, v31, v38
	v_add_f16_e32 v25, v27, v38
	v_sub_f16_e32 v26, v27, v38
	v_sub_f16_e32 v31, v4, v14
	v_add_f16_e32 v27, v2, v38
	v_add_f16_e32 v2, v4, v14
	v_lshrrev_b32_e32 v7, 16, v29
	v_sub_f16_e32 v33, v3, v6
	v_fmamk_f16 v32, v31, 0xbb9c, v0
	v_fmac_f16_e32 v0, 0x3b9c, v31
	v_fma_f16 v29, -0.5, v2, v16
	v_add_f16_e32 v2, v3, v6
	v_add_f16_e32 v30, v16, v3
	v_fmac_f16_e32 v32, 0x38b4, v33
	v_fmac_f16_e32 v0, 0xb8b4, v33
	v_lshrrev_b32_e32 v28, 16, v38
	v_fmac_f16_e32 v16, -0.5, v2
	v_sub_f16_e32 v2, v14, v6
	v_fmac_f16_e32 v32, 0x34f2, v1
	v_fmac_f16_e32 v0, 0x34f2, v1
	v_sub_f16_e32 v1, v4, v3
	v_fmamk_f16 v34, v13, 0x3b9c, v16
	v_fmac_f16_e32 v16, 0xbb9c, v13
	v_add_f16_e32 v15, v5, v15
	v_add_f16_e32 v5, v30, v4
	;; [unrolled: 1-line block ×3, first 2 shown]
	v_fmac_f16_e32 v34, 0xb8b4, v11
	v_fmac_f16_e32 v16, 0x38b4, v11
	v_add_f16_e32 v2, v18, v22
	v_add_f16_e32 v18, v7, v20
	;; [unrolled: 1-line block ×3, first 2 shown]
	v_fmac_f16_e32 v34, 0x34f2, v1
	v_fmac_f16_e32 v16, 0x34f2, v1
	v_lshrrev_b32_e32 v1, 16, v10
	v_fma_f16 v9, -0.5, v9, v10
	v_fmac_f16_e32 v10, -0.5, v25
	v_sub_f16_e32 v35, v20, v28
	v_sub_f16_e32 v3, v3, v4
	v_fma_f16 v18, -0.5, v18, v1
	v_add_f16_e32 v25, v1, v23
	v_fmac_f16_e32 v1, -0.5, v22
	v_sub_f16_e32 v22, v7, v23
	v_add_f16_e32 v4, v5, v14
	v_sub_f16_e32 v5, v6, v14
	v_sub_f16_e32 v37, v23, v28
	v_add_f16_e32 v17, v17, v21
	v_add_f16_e32 v22, v22, v35
	v_fmamk_f16 v35, v19, 0x3b9c, v1
	v_fmac_f16_e32 v1, 0xbb9c, v19
	v_add_f16_e32 v14, v3, v5
	v_add_f16_e32 v3, v25, v7
	;; [unrolled: 1-line block ×3, first 2 shown]
	v_fmac_f16_e32 v35, 0xb8b4, v26
	v_fmac_f16_e32 v1, 0x38b4, v26
	v_sub_f16_e32 v4, v23, v7
	v_add_f16_e32 v3, v3, v20
	v_sub_f16_e32 v5, v28, v20
	v_fmac_f16_e32 v35, 0x34f2, v22
	v_fmac_f16_e32 v1, 0x34f2, v22
	v_sub_f16_e32 v22, v7, v20
	v_add_f16_e32 v20, v3, v28
	v_fmamk_f16 v3, v37, 0x3b9c, v9
	v_add_f16_e32 v7, v4, v5
	v_fmamk_f16 v4, v26, 0xbb9c, v18
	v_fmamk_f16 v36, v22, 0xbb9c, v10
	v_fmac_f16_e32 v10, 0x3b9c, v22
	v_fmac_f16_e32 v3, 0x38b4, v22
	v_fmamk_f16 v21, v33, 0x3b9c, v12
	v_fmac_f16_e32 v4, 0xb8b4, v19
	v_fmamk_f16 v23, v11, 0xbb9c, v29
	v_fmac_f16_e32 v10, 0xb8b4, v37
	v_fmac_f16_e32 v3, 0x34f2, v17
	;; [unrolled: 1-line block ×6, first 2 shown]
	v_mul_f16_e32 v5, 0x3a79, v3
	v_mul_f16_e32 v6, 0xb8b4, v3
	v_fmac_f16_e32 v9, 0xbb9c, v37
	v_fmac_f16_e32 v10, 0x34f2, v2
	v_mul_f16_e32 v38, 0xb4f2, v1
	v_fmac_f16_e32 v36, 0x38b4, v37
	v_fmac_f16_e32 v5, 0x38b4, v4
	;; [unrolled: 1-line block ×8, first 2 shown]
	v_mul_f16_e32 v10, 0xb4f2, v10
	v_fmac_f16_e32 v36, 0x34f2, v2
	v_mul_f16_e32 v39, 0x3b9c, v35
	v_add_f16_e32 v3, v21, v5
	v_add_f16_e32 v4, v23, v6
	v_fmac_f16_e32 v29, 0x3b9c, v11
	v_fmac_f16_e32 v18, 0x34f2, v7
	;; [unrolled: 1-line block ×6, first 2 shown]
	v_mul_f16_e32 v36, 0xbb9c, v36
	v_pack_b32_f16 v4, v3, v4
	v_add_f16_e32 v3, v8, v27
	v_add_f16_e32 v25, v30, v20
	v_fmac_f16_e32 v29, 0x38b4, v13
	v_mul_f16_e32 v13, 0xba79, v18
	v_fmac_f16_e32 v12, 0xb8b4, v31
	v_mul_f16_e32 v11, 0xba79, v9
	v_fmac_f16_e32 v36, 0x34f2, v35
	v_add_f16_e32 v1, v0, v10
	v_add_f16_e32 v2, v16, v38
	v_pack_b32_f16 v3, v3, v25
	v_fmac_f16_e32 v13, 0xb8b4, v9
	v_sub_f16_e32 v8, v8, v27
	v_sub_f16_e32 v9, v30, v20
	v_add_co_u32 v25, null, 0xc0, v123
	v_fmac_f16_e32 v12, 0x34f2, v15
	v_fmac_f16_e32 v29, 0x34f2, v14
	v_fmac_f16_e32 v11, 0x38b4, v18
	v_pack_b32_f16 v2, v1, v2
	v_add_f16_e32 v1, v32, v39
	v_add_f16_e32 v35, v34, v36
	v_pack_b32_f16 v8, v8, v9
	v_mul_u32_u24_e32 v9, 10, v25
	v_sub_f16_e32 v5, v21, v5
	v_sub_f16_e32 v21, v32, v39
	;; [unrolled: 1-line block ×4, first 2 shown]
	v_add_f16_e32 v7, v12, v11
	v_add_f16_e32 v14, v29, v13
	v_pack_b32_f16 v1, v1, v35
	v_lshlrev_b32_e32 v147, 2, v9
	v_pack_b32_f16 v5, v5, v6
	v_pack_b32_f16 v6, v21, v23
	v_pack_b32_f16 v7, v7, v14
	ds_store_2addr_b64 v147, v[3:4], v[1:2] offset1:1
	ds_store_2addr_b64 v147, v[7:8], v[5:6] offset0:2 offset1:3
	v_sub_f16_e32 v0, v0, v10
	v_sub_f16_e32 v1, v12, v11
	;; [unrolled: 1-line block ×4, first 2 shown]
	v_and_b32_e32 v29, 0xff, v24
	v_and_b32_e32 v96, 0xffff, v25
	s_delay_alu instid0(VALU_DEP_4) | instskip(NEXT) | instid1(VALU_DEP_4)
	v_pack_b32_f16 v1, v1, v2
	v_pack_b32_f16 v0, v0, v3
	ds_store_b64 v147, v[0:1] offset:32
	v_mul_u32_u24_e32 v0, 0xcccd, v81
	global_wb scope:SCOPE_SE
	s_wait_dscnt 0x0
	s_barrier_signal -1
	s_barrier_wait -1
	global_inv scope:SCOPE_SE
	v_lshrrev_b32_e32 v23, 19, v0
	s_delay_alu instid0(VALU_DEP_1) | instskip(NEXT) | instid1(VALU_DEP_1)
	v_mul_lo_u16 v0, v23, 10
	v_sub_nc_u16 v26, v81, v0
	s_delay_alu instid0(VALU_DEP_1) | instskip(NEXT) | instid1(VALU_DEP_1)
	v_mul_lo_u16 v0, v26, 20
	v_and_b32_e32 v0, 0xffff, v0
	s_delay_alu instid0(VALU_DEP_1)
	v_add_co_u32 v0, s2, s6, v0
	s_wait_alu 0xf1ff
	v_add_co_ci_u32_e64 v1, null, s7, 0, s2
	s_clause 0x1
	global_load_b32 v140, v[0:1], off offset:16
	global_load_b128 v[236:239], v[0:1], off
	ds_load_2addr_b32 v[12:13], v121 offset0:64 offset1:160
	ds_load_2addr_b32 v[14:15], v85 offset0:128 offset1:224
	ds_load_2addr_b32 v[16:17], v135 offset1:96
	ds_load_2addr_b32 v[7:8], v127 offset0:64 offset1:160
	ds_load_2addr_b32 v[9:10], v118 offset1:96
	v_add_co_u32 v41, s2, 0x120, v123
	s_wait_alu 0xf1ff
	v_add_co_ci_u32_e64 v89, null, 0, 0, s2
	s_delay_alu instid0(VALU_DEP_2)
	v_and_b32_e32 v90, 0xffff, v41
	s_wait_dscnt 0x4
	v_lshrrev_b32_e32 v0, 16, v13
	s_wait_loadcnt 0x1
	v_lshrrev_b32_e32 v3, 16, v140
	s_wait_loadcnt 0x0
	v_lshrrev_b32_e32 v2, 16, v238
	v_lshrrev_b32_e32 v4, 16, v236
	s_wait_dscnt 0x3
	v_mul_f16_e32 v28, v15, v3
	s_delay_alu instid0(VALU_DEP_3) | instskip(SKIP_2) | instid1(VALU_DEP_2)
	v_mul_f16_e32 v1, v13, v2
	s_wait_dscnt 0x2
	v_mul_f16_e32 v27, v17, v4
	v_fmac_f16_e64 v1, v0, v238
	v_mul_f16_e32 v0, v0, v2
	v_lshrrev_b32_e32 v2, 16, v15
	s_delay_alu instid0(VALU_DEP_2) | instskip(NEXT) | instid1(VALU_DEP_2)
	v_fma_f16 v0, v13, v238, -v0
	v_fmac_f16_e64 v28, v2, v140
	v_mul_f16_e32 v2, v2, v3
	v_lshrrev_b32_e32 v3, 16, v17
	s_delay_alu instid0(VALU_DEP_2) | instskip(NEXT) | instid1(VALU_DEP_2)
	v_fma_f16 v15, v15, v140, -v2
	v_fmac_f16_e64 v27, v3, v236
	v_mul_f16_e32 v3, v3, v4
	s_delay_alu instid0(VALU_DEP_3) | instskip(NEXT) | instid1(VALU_DEP_3)
	v_add_f16_e32 v2, v0, v15
	v_add_f16_e32 v42, v27, v1
	s_delay_alu instid0(VALU_DEP_3)
	v_fma_f16 v13, v17, v236, -v3
	v_lshrrev_b32_e32 v3, 16, v239
	ds_load_2addr_b32 v[17:18], v107 offset0:128 offset1:224
	v_add_f16_e32 v30, v13, v0
	v_fmac_f16_e32 v13, -0.5, v2
	v_add_f16_e32 v2, v1, v28
	v_sub_f16_e32 v1, v1, v28
	s_wait_dscnt 0x1
	v_mul_f16_e32 v47, v9, v3
	v_sub_f16_e32 v0, v0, v15
	v_fmac_f16_e32 v27, -0.5, v2
	v_lshrrev_b32_e32 v2, 16, v237
	v_fmamk_f16 v44, v1, 0x3aee, v13
	v_fmac_f16_e32 v13, 0xbaee, v1
	v_lshrrev_b32_e32 v1, 16, v7
	v_fmamk_f16 v50, v0, 0xbaee, v27
	v_mul_f16_e32 v46, v7, v2
	v_fmac_f16_e32 v27, 0x3aee, v0
	s_wait_dscnt 0x0
	v_lshrrev_b32_e32 v31, 16, v17
	s_delay_alu instid0(VALU_DEP_3) | instskip(SKIP_2) | instid1(VALU_DEP_2)
	v_fmac_f16_e64 v46, v1, v237
	v_mul_f16_e32 v1, v1, v2
	v_lshrrev_b32_e32 v2, 16, v9
	v_fma_f16 v48, v7, v237, -v1
	s_delay_alu instid0(VALU_DEP_2) | instskip(SKIP_1) | instid1(VALU_DEP_3)
	v_fmac_f16_e64 v47, v2, v239
	v_mul_f16_e32 v2, v2, v3
	v_add_f16_e32 v51, v17, v48
	s_delay_alu instid0(VALU_DEP_3) | instskip(NEXT) | instid1(VALU_DEP_3)
	v_sub_f16_e32 v0, v46, v47
	v_fma_f16 v49, v9, v239, -v2
	s_delay_alu instid0(VALU_DEP_1) | instskip(NEXT) | instid1(VALU_DEP_1)
	v_add_f16_e32 v1, v48, v49
	v_fmac_f16_e32 v17, -0.5, v1
	v_lshrrev_b32_e32 v1, 16, v18
	s_delay_alu instid0(VALU_DEP_2) | instskip(SKIP_2) | instid1(VALU_DEP_1)
	v_fmamk_f16 v45, v0, 0x3aee, v17
	v_fmac_f16_e32 v17, 0xbaee, v0
	v_and_b32_e32 v0, 0xff, v43
	v_mul_lo_u16 v0, 0xcd, v0
	s_delay_alu instid0(VALU_DEP_1) | instskip(NEXT) | instid1(VALU_DEP_1)
	v_lshrrev_b16 v11, 11, v0
	v_mul_lo_u16 v0, v11, 10
	s_delay_alu instid0(VALU_DEP_1) | instskip(NEXT) | instid1(VALU_DEP_1)
	v_sub_nc_u16 v0, v43, v0
	v_and_b32_e32 v34, 0xff, v0
	v_mul_f16_e32 v0, -0.5, v13
	s_delay_alu instid0(VALU_DEP_2) | instskip(SKIP_4) | instid1(VALU_DEP_1)
	v_mad_co_u64_u32 v[4:5], null, v34, 20, s[6:7]
	s_clause 0x1
	global_load_b32 v152, v[4:5], off offset:16
	global_load_b128 v[209:212], v[4:5], off
	v_fmac_f16_e32 v0, 0x3aee, v27
	v_add_f16_e32 v52, v17, v0
	v_sub_f16_e32 v53, v17, v0
	v_lshrrev_b32_e32 v0, 16, v8
	s_wait_loadcnt 0x0
	v_lshrrev_b32_e32 v3, 16, v209
	v_lshrrev_b32_e32 v22, 16, v212
	s_delay_alu instid0(VALU_DEP_2) | instskip(SKIP_2) | instid1(VALU_DEP_3)
	v_mul_f16_e32 v2, v1, v3
	v_mul_f16_e32 v56, v18, v3
	v_lshrrev_b32_e32 v3, 16, v152
	v_fma_f16 v40, v18, v209, -v2
	v_lshrrev_b32_e32 v2, 16, v211
	s_delay_alu instid0(VALU_DEP_4) | instskip(SKIP_4) | instid1(VALU_DEP_2)
	v_fmac_f16_e64 v56, v1, v209
	ds_load_2addr_b32 v[17:18], v98 offset0:64 offset1:160
	v_mul_f16_e32 v7, v10, v3
	v_mul_f16_e32 v1, v0, v2
	;; [unrolled: 1-line block ×3, first 2 shown]
	v_fma_f16 v4, v8, v211, -v1
	v_lshrrev_b32_e32 v1, 16, v10
	v_lshrrev_b32_e32 v8, 16, v210
	s_delay_alu instid0(VALU_DEP_4) | instskip(NEXT) | instid1(VALU_DEP_3)
	v_fmac_f16_e64 v5, v0, v211
	v_mul_f16_e32 v2, v1, v3
	v_fmac_f16_e64 v7, v1, v152
	s_delay_alu instid0(VALU_DEP_2) | instskip(SKIP_4) | instid1(VALU_DEP_3)
	v_fma_f16 v6, v10, v152, -v2
	v_mul_lo_u16 v2, 0xcd, v29
	s_wait_dscnt 0x0
	v_lshrrev_b32_e32 v3, 16, v17
	v_mul_f16_e32 v10, v17, v8
	v_lshrrev_b16 v54, 11, v2
	s_delay_alu instid0(VALU_DEP_2) | instskip(SKIP_1) | instid1(VALU_DEP_3)
	v_fmac_f16_e64 v10, v3, v210
	v_mul_f16_e32 v3, v3, v8
	v_mul_lo_u16 v2, v54, 10
	s_delay_alu instid0(VALU_DEP_2) | instskip(NEXT) | instid1(VALU_DEP_2)
	v_fma_f16 v3, v17, v210, -v3
	v_sub_nc_u16 v2, v24, v2
	s_delay_alu instid0(VALU_DEP_1) | instskip(SKIP_1) | instid1(VALU_DEP_2)
	v_and_b32_e32 v55, 0xff, v2
	v_lshrrev_b32_e32 v2, 16, v18
	v_mad_co_u64_u32 v[8:9], null, v55, 20, s[6:7]
	s_clause 0x1
	global_load_b32 v144, v[8:9], off offset:16
	global_load_b128 v[131:134], v[8:9], off
	ds_load_2addr_b32 v[32:33], v128 offset1:96
	s_wait_dscnt 0x0
	v_lshrrev_b32_e32 v57, 16, v33
	v_lshrrev_b32_e32 v72, 16, v32
	s_wait_loadcnt 0x0
	v_lshrrev_b32_e32 v9, 16, v132
	v_lshrrev_b32_e32 v21, 16, v134
	;; [unrolled: 1-line block ×3, first 2 shown]
	s_delay_alu instid0(VALU_DEP_3) | instskip(SKIP_1) | instid1(VALU_DEP_2)
	v_mul_f16_e32 v8, v2, v9
	v_mul_f16_e32 v60, v18, v9
	v_fma_f16 v59, v18, v132, -v8
	ds_load_2addr_b32 v[17:18], v119 offset0:128 offset1:224
	v_fmac_f16_e64 v60, v2, v132
	v_lshrrev_b32_e32 v2, 16, v133
	v_add_f16_e32 v63, v33, v59
	s_wait_dscnt 0x0
	v_lshrrev_b32_e32 v8, 16, v17
	v_lshrrev_b32_e32 v19, 16, v18
	v_mul_f16_e32 v35, v17, v22
	v_mul_f16_e32 v62, v18, v21
	s_delay_alu instid0(VALU_DEP_4) | instskip(NEXT) | instid1(VALU_DEP_4)
	v_mul_f16_e32 v9, v8, v22
	v_mul_f16_e32 v20, v19, v21
	ds_load_2addr_b32 v[21:22], v191 offset0:64 offset1:160
	v_fmac_f16_e64 v62, v19, v134
	v_fmac_f16_e64 v35, v8, v212
	v_fma_f16 v9, v17, v212, -v9
	v_fma_f16 v61, v18, v134, -v20
	ds_load_2addr_b32 v[17:18], v95 offset1:96
	ds_load_2addr_b32 v[19:20], v110 offset0:64 offset1:160
	v_lshrrev_b32_e32 v8, 16, v144
	v_add_f16_e32 v0, v59, v61
	s_delay_alu instid0(VALU_DEP_1) | instskip(SKIP_1) | instid1(VALU_DEP_1)
	v_fmac_f16_e32 v33, -0.5, v0
	v_sub_f16_e32 v0, v60, v62
	v_fmamk_f16 v58, v0, 0x3aee, v33
	v_fmac_f16_e32 v33, 0xbaee, v0
	s_wait_dscnt 0x2
	v_mul_f16_e32 v64, v21, v36
	s_wait_dscnt 0x1
	v_lshrrev_b32_e32 v0, 16, v17
	v_mul_f16_e32 v1, v17, v2
	s_wait_dscnt 0x0
	v_mul_f16_e32 v65, v19, v8
	s_delay_alu instid0(VALU_DEP_2) | instskip(SKIP_2) | instid1(VALU_DEP_2)
	v_fmac_f16_e64 v1, v0, v133
	v_mul_f16_e32 v0, v0, v2
	v_lshrrev_b32_e32 v2, 16, v19
	v_fma_f16 v0, v17, v133, -v0
	s_delay_alu instid0(VALU_DEP_2) | instskip(SKIP_2) | instid1(VALU_DEP_2)
	v_fmac_f16_e64 v65, v2, v144
	v_mul_f16_e32 v2, v2, v8
	v_lshrrev_b32_e32 v8, 16, v21
	v_fma_f16 v66, v19, v144, -v2
	s_delay_alu instid0(VALU_DEP_2) | instskip(SKIP_1) | instid1(VALU_DEP_3)
	v_fmac_f16_e64 v64, v8, v131
	v_mul_f16_e32 v8, v8, v36
	v_add_f16_e32 v2, v0, v66
	s_delay_alu instid0(VALU_DEP_3) | instskip(NEXT) | instid1(VALU_DEP_3)
	v_add_f16_e32 v70, v64, v1
	v_fma_f16 v17, v21, v131, -v8
	v_add_f16_e32 v8, v10, v35
	s_delay_alu instid0(VALU_DEP_2) | instskip(SKIP_3) | instid1(VALU_DEP_2)
	v_add_f16_e32 v68, v17, v0
	v_fmac_f16_e32 v17, -0.5, v2
	v_sub_f16_e32 v2, v1, v65
	v_sub_f16_e32 v0, v0, v66
	v_fmamk_f16 v67, v2, 0x3aee, v17
	v_fmac_f16_e32 v17, 0xbaee, v2
	v_add_f16_e32 v2, v1, v65
	v_add_f16_e32 v1, v3, v9
	s_delay_alu instid0(VALU_DEP_2) | instskip(NEXT) | instid1(VALU_DEP_2)
	v_fmac_f16_e32 v64, -0.5, v2
	v_fma_f16 v71, -0.5, v1, v32
	v_add_f16_e32 v1, v32, v3
	v_sub_f16_e32 v2, v10, v35
	v_sub_f16_e32 v3, v3, v9
	v_fmamk_f16 v69, v0, 0xbaee, v64
	v_fmac_f16_e32 v64, 0x3aee, v0
	v_mul_f16_e32 v0, -0.5, v17
	v_add_f16_e32 v1, v1, v9
	v_add_f16_e32 v9, v40, v4
	;; [unrolled: 1-line block ×3, first 2 shown]
	s_delay_alu instid0(VALU_DEP_4) | instskip(NEXT) | instid1(VALU_DEP_2)
	v_fmac_f16_e32 v0, 0x3aee, v64
	v_fmac_f16_e32 v40, -0.5, v32
	s_delay_alu instid0(VALU_DEP_2)
	v_add_f16_e32 v21, v33, v0
	v_sub_f16_e32 v19, v33, v0
	v_add_f16_e32 v0, v72, v10
	v_fmac_f16_e32 v72, -0.5, v8
	v_add_f16_e32 v8, v5, v7
	v_add_f16_e32 v10, v56, v5
	s_delay_alu instid0(VALU_DEP_4) | instskip(NEXT) | instid1(VALU_DEP_3)
	v_add_f16_e32 v0, v0, v35
	v_fmac_f16_e32 v56, -0.5, v8
	v_sub_f16_e32 v8, v4, v6
	v_add_f16_e32 v6, v9, v6
	v_sub_f16_e32 v9, v5, v7
	v_add_f16_e32 v7, v10, v7
	s_delay_alu instid0(VALU_DEP_4) | instskip(SKIP_1) | instid1(VALU_DEP_4)
	v_fmamk_f16 v10, v8, 0xbaee, v56
	v_fmac_f16_e32 v56, 0x3aee, v8
	v_fmamk_f16 v5, v9, 0x3aee, v40
	v_fmac_f16_e32 v40, 0xbaee, v9
	s_delay_alu instid0(VALU_DEP_4) | instskip(NEXT) | instid1(VALU_DEP_1)
	v_mul_f16_e32 v4, 0x3aee, v10
	v_fmac_f16_e32 v4, 0.5, v5
	v_mul_f16_e32 v5, 0xbaee, v5
	s_delay_alu instid0(VALU_DEP_1) | instskip(SKIP_3) | instid1(VALU_DEP_3)
	v_fmac_f16_e32 v5, 0.5, v10
	v_and_b32_e32 v10, 0xffff, v11
	v_add_f16_e32 v11, v0, v7
	v_sub_f16_e32 v0, v0, v7
	v_mul_u32_u24_e32 v10, 60, v10
	s_delay_alu instid0(VALU_DEP_1) | instskip(SKIP_2) | instid1(VALU_DEP_2)
	v_add_lshl_u32 v148, v10, v34, 2
	v_add_f16_e32 v10, v1, v6
	v_sub_f16_e32 v1, v1, v6
	v_pack_b32_f16 v86, v10, v11
	v_fmamk_f16 v11, v2, 0x3aee, v71
	v_fmamk_f16 v10, v3, 0xbaee, v72
	v_fmac_f16_e32 v71, 0xbaee, v2
	v_fmac_f16_e32 v72, 0x3aee, v3
	v_mul_f16_e32 v2, -0.5, v40
	v_add_f16_e32 v32, v11, v4
	v_add_f16_e32 v33, v10, v5
	v_mul_f16_e32 v3, -0.5, v56
	v_pack_b32_f16 v0, v1, v0
	v_fmac_f16_e32 v2, 0x3aee, v56
	s_delay_alu instid0(VALU_DEP_4) | instskip(SKIP_2) | instid1(VALU_DEP_4)
	v_pack_b32_f16 v88, v32, v33
	v_mul_u32_u24_e32 v32, 0xcccd, v90
	v_fmac_f16_e32 v3, 0xbaee, v40
	v_add_f16_e32 v6, v71, v2
	v_sub_f16_e32 v1, v71, v2
	v_sub_f16_e32 v2, v10, v5
	v_lshrrev_b32_e32 v73, 19, v32
	v_mul_u32_u24_e32 v32, 0xcccd, v96
	v_add_f16_e32 v7, v72, v3
	v_sub_f16_e32 v3, v72, v3
	v_mul_f16_e32 v5, 0x3aee, v69
	s_delay_alu instid0(VALU_DEP_4)
	v_lshrrev_b32_e32 v74, 19, v32
	v_mul_lo_u16 v32, v73, 10
	v_pack_b32_f16 v6, v6, v7
	v_pack_b32_f16 v1, v1, v3
	v_and_b32_e32 v7, 0xffff, v54
	v_add_f16_e32 v3, v68, v66
	v_sub_nc_u16 v75, v41, v32
	v_mul_lo_u16 v32, v74, 10
	v_fmac_f16_e32 v5, 0.5, v67
	v_mul_u32_u24_e32 v7, 60, v7
	s_delay_alu instid0(VALU_DEP_3) | instskip(SKIP_1) | instid1(VALU_DEP_3)
	v_sub_nc_u16 v76, v25, v32
	v_mul_lo_u16 v32, v75, 20
	v_add_lshl_u32 v207, v7, v55, 2
	v_add_f16_e32 v9, v58, v5
	s_delay_alu instid0(VALU_DEP_4) | instskip(NEXT) | instid1(VALU_DEP_4)
	v_mul_lo_u16 v33, v76, 20
	v_and_b32_e32 v32, 0xffff, v32
	s_delay_alu instid0(VALU_DEP_2) | instskip(NEXT) | instid1(VALU_DEP_2)
	v_and_b32_e32 v34, 0xffff, v33
	v_add_co_u32 v32, s2, s6, v32
	s_wait_alu 0xf1ff
	v_add_co_ci_u32_e64 v33, null, s7, 0, s2
	s_delay_alu instid0(VALU_DEP_3)
	v_add_co_u32 v34, s2, s6, v34
	s_wait_alu 0xf1ff
	v_add_co_ci_u32_e64 v35, null, s7, 0, s2
	s_clause 0x3
	global_load_b32 v194, v[32:33], off offset:16
	global_load_b32 v203, v[34:35], off offset:16
	global_load_b128 v[36:39], v[34:35], off
	global_load_b128 v[77:80], v[32:33], off
	ds_load_2addr_b32 v[91:92], v137 offset0:64 offset1:160
	ds_load_2addr_b32 v[93:94], v129 offset0:128 offset1:224
	;; [unrolled: 1-line block ×3, first 2 shown]
	global_wb scope:SCOPE_SE
	s_wait_loadcnt_dscnt 0x0
	s_barrier_signal -1
	s_barrier_wait -1
	global_inv scope:SCOPE_SE
	ds_store_2addr_b32 v148, v6, v0 offset0:20 offset1:30
	v_sub_f16_e32 v0, v11, v4
	v_add_f16_e32 v4, v70, v65
	v_mul_f16_e32 v6, 0xbaee, v67
	ds_store_2addr_b32 v148, v86, v88 offset1:10
	scratch_store_b32 off, v81, off offset:252 ; 4-byte Folded Spill
	v_pack_b32_f16 v0, v0, v2
	v_sub_f16_e32 v2, v59, v61
	v_fmac_f16_e32 v6, 0.5, v69
	ds_store_2addr_b32 v148, v0, v1 offset0:40 offset1:50
	v_add_f16_e32 v0, v57, v60
	v_add_f16_e32 v1, v60, v62
	v_lshrrev_b32_e32 v11, 16, v94
	s_delay_alu instid0(VALU_DEP_3) | instskip(NEXT) | instid1(VALU_DEP_3)
	v_add_f16_e32 v0, v0, v62
	v_fmac_f16_e32 v57, -0.5, v1
	v_add_f16_e32 v1, v63, v61
	v_lshrrev_b32_e32 v63, 16, v91
	s_delay_alu instid0(VALU_DEP_4) | instskip(SKIP_1) | instid1(VALU_DEP_4)
	v_add_f16_e32 v8, v0, v4
	v_sub_f16_e32 v0, v0, v4
	v_add_f16_e32 v7, v1, v3
	v_sub_f16_e32 v1, v1, v3
	s_delay_alu instid0(VALU_DEP_2) | instskip(SKIP_4) | instid1(VALU_DEP_4)
	v_pack_b32_f16 v7, v7, v8
	v_fmamk_f16 v8, v2, 0xbaee, v57
	v_fmac_f16_e32 v57, 0x3aee, v2
	v_mul_f16_e32 v2, -0.5, v64
	v_pack_b32_f16 v0, v1, v0
	v_add_f16_e32 v10, v8, v6
	v_sub_f16_e32 v1, v8, v6
	s_delay_alu instid0(VALU_DEP_4) | instskip(SKIP_1) | instid1(VALU_DEP_4)
	v_fmac_f16_e32 v2, 0xbaee, v17
	v_lshrrev_b32_e32 v6, 16, v20
	v_pack_b32_f16 v9, v9, v10
	s_delay_alu instid0(VALU_DEP_3)
	v_add_f16_e32 v3, v57, v2
	v_sub_f16_e32 v2, v57, v2
	ds_store_2addr_b32 v207, v7, v9 offset1:10
	v_lshrrev_b32_e32 v9, 16, v93
	v_pack_b32_f16 v3, v21, v3
	ds_store_2addr_b32 v207, v3, v0 offset0:20 offset1:30
	v_sub_f16_e32 v0, v58, v5
	v_lshrrev_b32_e32 v3, 16, v18
	v_lshrrev_b32_e32 v58, 16, v14
	s_delay_alu instid0(VALU_DEP_3)
	v_pack_b32_f16 v0, v0, v1
	v_pack_b32_f16 v1, v19, v2
	ds_store_2addr_b32 v207, v0, v1 offset0:40 offset1:50
	v_lshrrev_b32_e32 v0, 16, v22
	v_lshrrev_b32_e32 v34, 16, v194
	;; [unrolled: 1-line block ×7, first 2 shown]
	v_mul_f16_e64 v7, v6, v223
	v_mul_f16_e32 v10, v93, v56
	v_mul_f16_e64 v8, v20, v223
	v_mul_f16_e32 v21, v99, v40
	v_mul_f16_e32 v4, v3, v64
	v_fma_f16 v7, v20, v203, -v7
	v_fmac_f16_e32 v10, v9, v37
	v_mul_f16_e32 v9, v9, v56
	v_lshrrev_b32_e32 v20, 16, v99
	v_mul_f16_e32 v5, v18, v64
	v_mul_f16_e32 v1, v0, v57
	;; [unrolled: 1-line block ×3, first 2 shown]
	v_fma_f16 v9, v93, v37, -v9
	v_fmac_f16_e32 v21, v20, v39
	v_mul_f16_e32 v20, v20, v40
	v_fma_f16 v4, v18, v38, -v4
	v_fmac_f16_e32 v5, v3, v38
	v_fmac_f16_e64 v8, v6, v203
	v_add_f16_e32 v67, v91, v9
	v_fma_f16 v20, v99, v39, -v20
	v_add_f16_e32 v69, v10, v21
	v_fma_f16 v1, v22, v36, -v1
	v_fmac_f16_e32 v2, v0, v36
	v_add_f16_e32 v68, v63, v10
	v_add_f16_e32 v61, v9, v20
	v_fmac_f16_e32 v63, -0.5, v69
	v_add_f16_e32 v67, v67, v20
	v_sub_f16_e32 v9, v9, v20
	v_add_f16_e32 v20, v5, v8
	v_add_f16_e32 v69, v4, v7
	v_sub_f16_e32 v10, v10, v21
	v_add_f16_e32 v21, v68, v21
	v_add_f16_e32 v68, v2, v5
	v_fmac_f16_e32 v2, -0.5, v20
	v_add_f16_e32 v20, v1, v4
	v_sub_f16_e32 v4, v4, v7
	v_fmac_f16_e32 v1, -0.5, v69
	v_sub_f16_e32 v5, v5, v8
	v_lshrrev_b32_e32 v0, 16, v16
	v_lshrrev_b32_e32 v86, 16, v77
	v_add_f16_e32 v7, v20, v7
	v_add_f16_e32 v8, v68, v8
	v_fmamk_f16 v20, v4, 0xbaee, v2
	v_fmamk_f16 v68, v5, 0x3aee, v1
	v_fmac_f16_e32 v1, 0xbaee, v5
	v_mul_f16_e32 v3, v0, v86
	v_lshrrev_b32_e32 v233, 16, v78
	v_lshrrev_b32_e32 v22, 16, v100
	;; [unrolled: 1-line block ×3, first 2 shown]
	v_mul_f16_e32 v69, 0x3aee, v20
	v_fmac_f16_e32 v2, 0x3aee, v4
	v_mul_f16_e32 v4, -0.5, v1
	v_fma_f16 v3, v16, v77, -v3
	v_mul_f16_e32 v6, v16, v86
	v_mul_f16_e64 v16, v11, v233
	v_lshrrev_b32_e32 v18, 16, v12
	v_lshrrev_b32_e32 v66, 16, v79
	v_mul_f16_e32 v54, v22, v65
	v_fma_f16 v61, -0.5, v61, v91
	v_fmac_f16_e32 v69, 0.5, v68
	v_mul_f16_e32 v68, 0xbaee, v68
	v_add_f16_e32 v70, v67, v7
	v_add_f16_e32 v71, v21, v8
	v_fmac_f16_e32 v4, 0x3aee, v2
	v_mul_f16_e32 v2, -0.5, v2
	v_fma_f16 v16, v94, v78, -v16
	v_mul_f16_e64 v17, v94, v233
	v_mul_f16_e32 v19, v18, v66
	v_fma_f16 v54, v100, v80, -v54
	v_mul_f16_e32 v55, v100, v65
	v_fmac_f16_e32 v68, 0.5, v20
	v_mad_u16 v20, v74, 60, v76
	v_pack_b32_f16 v70, v70, v71
	v_fmamk_f16 v71, v10, 0x3aee, v61
	v_fmamk_f16 v72, v9, 0xbaee, v63
	v_fmac_f16_e32 v61, 0xbaee, v10
	v_fmac_f16_e32 v63, 0x3aee, v9
	;; [unrolled: 1-line block ×3, first 2 shown]
	v_fma_f16 v19, v12, v79, -v19
	v_mul_f16_e32 v12, v12, v66
	v_mul_f16_e32 v59, v58, v34
	v_fmac_f16_e32 v6, v0, v77
	v_fmac_f16_e32 v17, v11, v78
	;; [unrolled: 1-line block ×3, first 2 shown]
	v_add_f16_e32 v0, v16, v54
	v_and_b32_e32 v20, 0xffff, v20
	v_sub_f16_e32 v1, v67, v7
	v_sub_f16_e32 v5, v21, v8
	v_add_f16_e32 v7, v61, v4
	v_add_f16_e32 v8, v63, v2
	v_fma_f16 v59, v14, v194, -v59
	v_mul_f16_e32 v14, v14, v34
	v_fmac_f16_e32 v12, v18, v79
	v_lshrrev_b32_e32 v11, 16, v92
	v_add_f16_e32 v18, v92, v16
	v_fmac_f16_e32 v92, -0.5, v0
	v_sub_f16_e32 v0, v17, v55
	v_lshlrev_b32_e32 v235, 2, v20
	v_pack_b32_f16 v7, v7, v8
	v_pack_b32_f16 v1, v1, v5
	v_fmac_f16_e64 v14, v58, v194
	v_fmamk_f16 v22, v0, 0x3aee, v92
	v_fmac_f16_e32 v92, 0xbaee, v0
	v_add_f16_e32 v0, v19, v59
	ds_store_2addr_b32 v235, v7, v1 offset0:20 offset1:30
	v_sub_f16_e32 v1, v71, v69
	v_sub_f16_e32 v4, v61, v4
	;; [unrolled: 1-line block ×4, first 2 shown]
	v_add_f16_e32 v58, v3, v19
	v_fmac_f16_e32 v3, -0.5, v0
	v_sub_f16_e32 v0, v12, v14
	v_pack_b32_f16 v1, v1, v5
	v_pack_b32_f16 v2, v4, v2
	v_add_f16_e32 v5, v58, v59
	v_sub_f16_e32 v4, v16, v54
	v_fmamk_f16 v60, v0, 0x3aee, v3
	v_fmac_f16_e32 v3, 0xbaee, v0
	v_add_f16_e32 v0, v12, v14
	v_add_f16_e32 v12, v6, v12
	ds_store_2addr_b32 v235, v1, v2 offset0:40 offset1:50
	v_add_f16_e32 v1, v11, v17
	v_add_f16_e32 v2, v17, v55
	v_fmac_f16_e32 v6, -0.5, v0
	v_sub_f16_e32 v0, v19, v59
	v_add_f16_e32 v7, v12, v14
	v_add_f16_e32 v1, v1, v55
	v_fmac_f16_e32 v11, -0.5, v2
	v_add_f16_e32 v2, v18, v54
	v_fmamk_f16 v19, v0, 0xbaee, v6
	v_fmac_f16_e32 v6, 0x3aee, v0
	v_add_f16_e32 v14, v1, v7
	v_mul_f16_e32 v0, -0.5, v3
	v_add_f16_e32 v12, v2, v5
	v_mad_u16 v10, v73, 60, v75
	v_add_f16_e32 v74, v71, v69
	v_add_f16_e32 v76, v72, v68
	v_fmac_f16_e32 v0, 0x3aee, v6
	v_pack_b32_f16 v12, v12, v14
	v_fmamk_f16 v14, v4, 0xbaee, v11
	v_fmac_f16_e32 v11, 0x3aee, v4
	v_mul_f16_e32 v4, -0.5, v6
	v_add_f16_e32 v62, v92, v0
	v_mul_f16_e32 v8, 0x3aee, v19
	v_mul_f16_e32 v9, 0xbaee, v60
	v_and_b32_e32 v10, 0xffff, v10
	v_fmac_f16_e32 v4, 0xbaee, v3
	v_sub_f16_e32 v2, v2, v5
	v_sub_f16_e32 v1, v1, v7
	v_pack_b32_f16 v74, v74, v76
	v_fmac_f16_e32 v8, 0.5, v60
	v_add_f16_e32 v3, v11, v4
	v_fmac_f16_e32 v9, 0.5, v19
	v_lshlrev_b32_e32 v231, 2, v10
	v_pack_b32_f16 v1, v2, v1
	v_sub_f16_e32 v0, v92, v0
	v_pack_b32_f16 v3, v62, v3
	ds_store_2addr_b32 v235, v70, v74 offset1:10
	v_sub_f16_e32 v2, v14, v9
	v_add_f16_e32 v16, v22, v8
	v_add_f16_e32 v17, v14, v9
	ds_store_2addr_b32 v231, v3, v1 offset0:20 offset1:30
	v_sub_f16_e32 v1, v22, v8
	v_sub_f16_e32 v3, v11, v4
	v_add_f16_e32 v4, v42, v28
	v_mad_u16 v7, v23, 60, v26
	v_mul_f16_e32 v5, 0x3aee, v50
	v_pack_b32_f16 v1, v1, v2
	v_pack_b32_f16 v0, v0, v3
	v_add_f16_e32 v2, v51, v49
	v_add_f16_e32 v3, v30, v15
	v_mul_f16_e32 v6, 0xbaee, v44
	v_and_b32_e32 v7, 0xffff, v7
	ds_store_2addr_b32 v231, v1, v0 offset0:40 offset1:50
	v_add_f16_e32 v1, v31, v46
	v_add_f16_e32 v0, v46, v47
	;; [unrolled: 1-line block ×3, first 2 shown]
	v_sub_f16_e32 v2, v2, v3
	v_pack_b32_f16 v16, v16, v17
	v_add_f16_e32 v1, v1, v47
	v_fmac_f16_e32 v31, -0.5, v0
	v_sub_f16_e32 v0, v48, v49
	v_fmac_f16_e32 v5, 0.5, v44
	v_fmac_f16_e32 v6, 0.5, v50
	v_add_f16_e32 v9, v1, v4
	v_sub_f16_e32 v1, v1, v4
	v_lshlrev_b32_e32 v226, 2, v7
	ds_store_2addr_b32 v231, v12, v16 offset1:10
	v_add_f16_e32 v10, v45, v5
	v_pack_b32_f16 v8, v8, v9
	v_fmamk_f16 v9, v0, 0xbaee, v31
	v_fmac_f16_e32 v31, 0x3aee, v0
	v_mul_f16_e32 v0, -0.5, v27
	v_pack_b32_f16 v1, v2, v1
	s_delay_alu instid0(VALU_DEP_4) | instskip(SKIP_1) | instid1(VALU_DEP_4)
	v_sub_f16_e32 v2, v9, v6
	v_add_f16_e32 v11, v9, v6
	v_fmac_f16_e32 v0, 0xbaee, v13
	s_delay_alu instid0(VALU_DEP_2) | instskip(NEXT) | instid1(VALU_DEP_2)
	v_pack_b32_f16 v10, v10, v11
	v_add_f16_e32 v3, v31, v0
	v_sub_f16_e32 v0, v31, v0
	ds_store_2addr_b32 v226, v8, v10 offset1:10
	v_pack_b32_f16 v3, v52, v3
	v_pack_b32_f16 v0, v53, v0
	ds_store_2addr_b32 v226, v3, v1 offset0:20 offset1:30
	v_sub_f16_e32 v1, v45, v5
	s_delay_alu instid0(VALU_DEP_1)
	v_pack_b32_f16 v1, v1, v2
	ds_store_2addr_b32 v226, v1, v0 offset0:40 offset1:50
	v_subrev_nc_u32_e32 v0, 60, v123
	global_wb scope:SCOPE_SE
	s_wait_storecnt_dscnt 0x0
	s_barrier_signal -1
	s_barrier_wait -1
	global_inv scope:SCOPE_SE
	v_cndmask_b32_e32 v0, v0, v123, vcc_lo
	s_delay_alu instid0(VALU_DEP_1) | instskip(SKIP_1) | instid1(VALU_DEP_2)
	v_mul_i32_i24_e32 v1, 20, v0
	v_mul_hi_i32_i24_e32 v2, 20, v0
	v_add_co_u32 v16, vcc_lo, s6, v1
	v_mul_u32_u24_e32 v1, 0x8889, v81
	s_wait_alu 0xfffd
	s_delay_alu instid0(VALU_DEP_3) | instskip(SKIP_1) | instid1(VALU_DEP_3)
	v_add_co_ci_u32_e32 v17, vcc_lo, s7, v2, vcc_lo
	v_cmp_lt_u16_e32 vcc_lo, 59, v43
	v_lshrrev_b32_e32 v1, 21, v1
	s_delay_alu instid0(VALU_DEP_1) | instskip(NEXT) | instid1(VALU_DEP_1)
	v_mul_lo_u16 v2, v1, 60
	v_sub_nc_u16 v2, v81, v2
	s_delay_alu instid0(VALU_DEP_1) | instskip(SKIP_1) | instid1(VALU_DEP_2)
	v_mul_lo_u16 v3, v2, 20
	v_mad_u16 v1, 0x168, v1, v2
	v_and_b32_e32 v3, 0xffff, v3
	s_delay_alu instid0(VALU_DEP_2) | instskip(NEXT) | instid1(VALU_DEP_2)
	v_and_b32_e32 v1, 0xffff, v1
	v_add_co_u32 v12, s2, s6, v3
	s_wait_alu 0xf1ff
	v_add_co_ci_u32_e64 v13, null, s7, 0, s2
	s_clause 0x1
	global_load_b32 v162, v[12:13], off offset:216
	global_load_b128 v[240:243], v[12:13], off offset:200
	ds_load_2addr_b32 v[18:19], v127 offset0:64 offset1:160
	ds_load_2addr_b32 v[26:27], v118 offset1:96
	ds_load_2addr_b32 v[30:31], v107 offset0:128 offset1:224
	ds_load_2addr_b32 v[44:45], v121 offset0:64 offset1:160
	;; [unrolled: 1-line block ×3, first 2 shown]
	ds_load_2addr_b32 v[48:49], v135 offset1:96
	s_clause 0x1
	global_load_b32 v196, v[16:17], off offset:216
	global_load_b128 v[73:76], v[16:17], off offset:200
	v_lshlrev_b32_e32 v175, 2, v1
	s_wait_dscnt 0x5
	v_lshrrev_b32_e32 v3, 16, v18
	s_wait_dscnt 0x3
	v_lshrrev_b32_e32 v8, 16, v30
	v_lshrrev_b32_e32 v22, 16, v31
	s_wait_loadcnt 0x3
	v_lshrrev_b32_e32 v14, 16, v162
	s_wait_loadcnt 0x2
	v_lshrrev_b32_e32 v5, 16, v241
	v_lshrrev_b32_e32 v7, 16, v243
	;; [unrolled: 1-line block ×3, first 2 shown]
	s_wait_dscnt 0x1
	v_mul_f16_e32 v13, v47, v14
	v_mul_f16_e32 v4, v18, v5
	;; [unrolled: 1-line block ×4, first 2 shown]
	s_wait_loadcnt 0x0
	v_lshrrev_b32_e32 v214, 16, v73
	v_lshrrev_b32_e32 v234, 16, v75
	v_fmac_f16_e64 v4, v3, v241
	v_mul_f16_e32 v3, v3, v5
	v_lshrrev_b32_e32 v5, 16, v26
	v_mul_f16_e64 v16, v22, v214
	v_lshrrev_b32_e32 v245, 16, v196
	v_lshrrev_b32_e32 v173, 16, v74
	v_fma_f16 v3, v18, v241, -v3
	v_fmac_f16_e64 v6, v5, v243
	v_mul_f16_e32 v5, v5, v7
	v_lshrrev_b32_e32 v18, 16, v240
	v_fma_f16 v23, v31, v73, -v16
	v_add_f16_e32 v9, v30, v3
	v_lshrrev_b32_e32 v171, 16, v76
	v_fma_f16 v5, v26, v243, -v5
	s_wait_dscnt 0x0
	v_mul_f16_e32 v15, v49, v18
	s_delay_alu instid0(VALU_DEP_2) | instskip(SKIP_1) | instid1(VALU_DEP_2)
	v_add_f16_e32 v7, v3, v5
	v_sub_f16_e32 v3, v3, v5
	v_fmac_f16_e32 v30, -0.5, v7
	v_sub_f16_e32 v7, v4, v6
	s_delay_alu instid0(VALU_DEP_1) | instskip(SKIP_2) | instid1(VALU_DEP_1)
	v_fmamk_f16 v10, v7, 0x3aee, v30
	v_fmac_f16_e32 v30, 0xbaee, v7
	v_lshrrev_b32_e32 v7, 16, v45
	v_fmac_f16_e64 v11, v7, v242
	v_mul_f16_e32 v7, v7, v12
	v_lshrrev_b32_e32 v12, 16, v47
	s_delay_alu instid0(VALU_DEP_2) | instskip(NEXT) | instid1(VALU_DEP_2)
	v_fma_f16 v7, v45, v242, -v7
	v_fmac_f16_e64 v13, v12, v162
	v_mul_f16_e32 v12, v12, v14
	v_lshrrev_b32_e32 v14, 16, v49
	v_mul_f16_e64 v45, v31, v214
	s_delay_alu instid0(VALU_DEP_3) | instskip(NEXT) | instid1(VALU_DEP_3)
	v_fma_f16 v12, v47, v162, -v12
	v_fmac_f16_e64 v15, v14, v240
	v_mul_f16_e32 v14, v14, v18
	s_delay_alu instid0(VALU_DEP_4) | instskip(SKIP_4) | instid1(VALU_DEP_4)
	v_fmac_f16_e32 v45, v22, v73
	v_lshrrev_b32_e32 v22, 16, v19
	v_add_f16_e32 v18, v7, v12
	v_mul_f16_e64 v47, v27, v245
	v_fma_f16 v14, v49, v240, -v14
	v_mul_f16_e64 v16, v22, v234
	s_delay_alu instid0(VALU_DEP_2)
	v_add_f16_e32 v20, v14, v7
	v_fmac_f16_e32 v14, -0.5, v18
	v_sub_f16_e32 v18, v11, v13
	v_sub_f16_e32 v7, v7, v12
	v_fma_f16 v28, v19, v75, -v16
	v_mul_f16_e64 v19, v19, v234
	s_delay_alu instid0(VALU_DEP_4)
	v_fmamk_f16 v21, v18, 0x3aee, v14
	v_fmac_f16_e32 v14, 0xbaee, v18
	v_add_f16_e32 v18, v11, v13
	v_add_f16_e32 v11, v15, v11
	v_fmac_f16_e32 v19, v22, v75
	v_mul_u32_u24_e32 v22, 0x8889, v96
	s_delay_alu instid0(VALU_DEP_4) | instskip(NEXT) | instid1(VALU_DEP_2)
	v_fmac_f16_e32 v15, -0.5, v18
	v_lshrrev_b32_e32 v22, 21, v22
	s_delay_alu instid0(VALU_DEP_2) | instskip(SKIP_2) | instid1(VALU_DEP_2)
	v_fmamk_f16 v18, v7, 0xbaee, v15
	v_fmac_f16_e32 v15, 0x3aee, v7
	v_mul_f16_e32 v7, -0.5, v14
	v_mul_f16_e32 v1, -0.5, v15
	s_delay_alu instid0(VALU_DEP_2) | instskip(NEXT) | instid1(VALU_DEP_2)
	v_fmac_f16_e32 v7, 0x3aee, v15
	v_fmac_f16_e32 v1, 0xbaee, v14
	s_delay_alu instid0(VALU_DEP_2) | instskip(SKIP_2) | instid1(VALU_DEP_1)
	v_add_f16_e32 v42, v30, v7
	v_sub_f16_e32 v7, v30, v7
	v_lshrrev_b32_e32 v30, 16, v27
	v_mul_f16_e64 v16, v30, v245
	v_fmac_f16_e64 v47, v30, v196
	s_delay_alu instid0(VALU_DEP_2) | instskip(SKIP_3) | instid1(VALU_DEP_2)
	v_fma_f16 v31, v27, v196, -v16
	ds_load_2addr_b32 v[26:27], v98 offset0:64 offset1:160
	v_mul_lo_u16 v16, 0x89, v29
	v_sub_f16_e32 v112, v28, v31
	v_lshrrev_b16 v55, 13, v16
	s_delay_alu instid0(VALU_DEP_1) | instskip(NEXT) | instid1(VALU_DEP_1)
	v_mul_lo_u16 v16, v55, 60
	v_sub_nc_u16 v16, v24, v16
	s_wait_dscnt 0x0
	v_lshrrev_b32_e32 v17, 16, v26
	v_mul_f16_e64 v29, v26, v173
	s_delay_alu instid0(VALU_DEP_3) | instskip(SKIP_1) | instid1(VALU_DEP_3)
	v_and_b32_e32 v69, 0xff, v16
	v_lshrrev_b32_e32 v24, 16, v27
	v_fmac_f16_e32 v29, v17, v74
	v_mul_f16_e64 v17, v17, v173
	s_delay_alu instid0(VALU_DEP_1)
	v_fma_f16 v58, v26, v74, -v17
	v_mad_co_u64_u32 v[16:17], null, v69, 20, s[6:7]
	s_clause 0x1
	global_load_b32 v166, v[16:17], off offset:216
	global_load_b128 v[81:84], v[16:17], off offset:200
	s_wait_loadcnt 0x1
	v_lshrrev_b32_e32 v32, 16, v166
	s_wait_loadcnt 0x0
	v_lshrrev_b32_e32 v187, 16, v82
	v_lshrrev_b32_e32 v189, 16, v84
	;; [unrolled: 1-line block ×4, first 2 shown]
	s_delay_alu instid0(VALU_DEP_4) | instskip(SKIP_1) | instid1(VALU_DEP_2)
	v_mul_f16_e64 v16, v24, v187
	v_mul_f16_e64 v17, v27, v187
	v_fma_f16 v16, v27, v82, -v16
	ds_load_2addr_b32 v[26:27], v119 offset0:128 offset1:224
	v_fmac_f16_e32 v17, v24, v82
	v_mul_lo_u16 v24, v22, 60
	s_delay_alu instid0(VALU_DEP_1) | instskip(SKIP_2) | instid1(VALU_DEP_1)
	v_sub_nc_u16 v91, v25, v24
	ds_load_2addr_b32 v[24:25], v128 offset1:96
	v_mad_u16 v22, 0x168, v22, v91
	v_and_b32_e32 v22, 0xffff, v22
	s_wait_dscnt 0x1
	v_lshrrev_b32_e32 v49, 16, v26
	v_mul_f16_e64 v88, v27, v189
	s_delay_alu instid0(VALU_DEP_3) | instskip(NEXT) | instid1(VALU_DEP_3)
	v_lshlrev_b32_e32 v179, 2, v22
	v_mul_f16_e64 v50, v49, v171
	s_wait_dscnt 0x0
	v_lshrrev_b32_e32 v92, 16, v25
	v_add_f16_e32 v93, v25, v16
	s_delay_alu instid0(VALU_DEP_3) | instskip(SKIP_3) | instid1(VALU_DEP_4)
	v_fma_f16 v59, v26, v76, -v50
	v_lshrrev_b32_e32 v50, 16, v27
	v_mul_f16_e64 v26, v26, v171
	v_lshrrev_b32_e32 v105, 16, v24
	v_sub_f16_e32 v111, v58, v59
	s_delay_alu instid0(VALU_DEP_4) | instskip(NEXT) | instid1(VALU_DEP_4)
	v_mul_f16_e64 v51, v50, v189
	v_fmac_f16_e32 v26, v49, v76
	v_fmac_f16_e32 v88, v50, v84
	ds_load_2addr_b32 v[49:50], v95 offset1:96
	v_fma_f16 v72, v27, v84, -v51
	ds_load_2addr_b32 v[51:52], v110 offset0:64 offset1:160
	v_sub_f16_e32 v106, v29, v26
	v_add_f16_e32 v27, v16, v72
	v_sub_f16_e32 v16, v16, v72
	s_delay_alu instid0(VALU_DEP_2) | instskip(SKIP_1) | instid1(VALU_DEP_1)
	v_fmac_f16_e32 v25, -0.5, v27
	v_sub_f16_e32 v27, v17, v88
	v_fmamk_f16 v94, v27, 0x3aee, v25
	v_fmac_f16_e32 v25, 0xbaee, v27
	s_wait_dscnt 0x1
	v_lshrrev_b32_e32 v27, 16, v49
	v_mul_f16_e64 v30, v49, v176
	s_wait_dscnt 0x0
	v_lshrrev_b32_e32 v53, 16, v51
	v_mul_f16_e32 v96, v51, v32
	s_delay_alu instid0(VALU_DEP_3) | instskip(SKIP_1) | instid1(VALU_DEP_4)
	v_fmac_f16_e32 v30, v27, v83
	v_mul_f16_e64 v27, v27, v176
	v_mul_f16_e32 v67, v53, v32
	s_delay_alu instid0(VALU_DEP_4)
	v_fmac_f16_e64 v96, v53, v166
	ds_load_2addr_b32 v[53:54], v191 offset0:64 offset1:160
	v_fma_f16 v27, v49, v83, -v27
	v_fma_f16 v49, v51, v166, -v67
	s_wait_dscnt 0x0
	v_lshrrev_b32_e32 v68, 16, v53
	v_mul_f16_e64 v97, v53, v167
	s_delay_alu instid0(VALU_DEP_1) | instskip(SKIP_1) | instid1(VALU_DEP_2)
	v_fmac_f16_e32 v97, v68, v81
	v_mul_f16_e64 v68, v68, v167
	v_add_f16_e32 v101, v97, v30
	s_delay_alu instid0(VALU_DEP_2) | instskip(SKIP_1) | instid1(VALU_DEP_2)
	v_fma_f16 v51, v53, v81, -v68
	v_add_f16_e32 v53, v27, v49
	v_add_f16_e32 v99, v51, v27
	s_delay_alu instid0(VALU_DEP_2) | instskip(SKIP_2) | instid1(VALU_DEP_2)
	v_fmac_f16_e32 v51, -0.5, v53
	v_sub_f16_e32 v53, v30, v96
	v_sub_f16_e32 v27, v27, v49
	v_fmamk_f16 v100, v53, 0x3aee, v51
	v_fmac_f16_e32 v51, 0xbaee, v53
	v_add_f16_e32 v53, v30, v96
	v_add_f16_e32 v30, v58, v59
	s_delay_alu instid0(VALU_DEP_2) | instskip(NEXT) | instid1(VALU_DEP_2)
	v_fmac_f16_e32 v97, -0.5, v53
	v_fma_f16 v102, -0.5, v30, v24
	v_add_f16_e32 v24, v24, v58
	s_delay_alu instid0(VALU_DEP_3) | instskip(SKIP_2) | instid1(VALU_DEP_4)
	v_fmamk_f16 v53, v27, 0xbaee, v97
	v_fmac_f16_e32 v97, 0x3aee, v27
	v_mul_f16_e32 v27, -0.5, v51
	v_add_f16_e32 v109, v24, v59
	v_add_f16_e32 v24, v19, v47
	v_fmamk_f16 v116, v106, 0x3aee, v102
	v_fmac_f16_e32 v102, 0xbaee, v106
	v_fmac_f16_e32 v27, 0x3aee, v97
	s_delay_alu instid0(VALU_DEP_1) | instskip(SKIP_3) | instid1(VALU_DEP_2)
	v_add_f16_e32 v103, v25, v27
	v_sub_f16_e32 v104, v25, v27
	v_add_f16_e32 v25, v105, v29
	v_add_f16_e32 v27, v29, v26
	;; [unrolled: 1-line block ×5, first 2 shown]
	v_fmac_f16_e32 v45, -0.5, v24
	v_add_f16_e32 v24, v23, v28
	v_sub_f16_e32 v19, v19, v47
	v_fmac_f16_e32 v23, -0.5, v26
	v_add_f16_e32 v47, v25, v47
	v_fmac_f16_e32 v105, -0.5, v27
	v_add_f16_e32 v113, v24, v31
	v_fmamk_f16 v24, v112, 0xbaee, v45
	v_fmamk_f16 v25, v19, 0x3aee, v23
	v_fmac_f16_e32 v23, 0xbaee, v19
	v_fmamk_f16 v117, v111, 0xbaee, v105
	v_fmac_f16_e32 v45, 0x3aee, v112
	v_mul_f16_e32 v114, 0x3aee, v24
	v_mul_f16_e32 v115, 0xbaee, v25
	v_fmac_f16_e32 v105, 0x3aee, v111
	s_delay_alu instid0(VALU_DEP_4) | instskip(NEXT) | instid1(VALU_DEP_4)
	v_mul_f16_e32 v19, -0.5, v45
	v_fmac_f16_e32 v114, 0.5, v25
	s_delay_alu instid0(VALU_DEP_4)
	v_fmac_f16_e32 v115, 0.5, v24
	s_wait_alu 0xfffd
	v_cndmask_b32_e64 v24, 0, 0x168, vcc_lo
	v_cmp_gt_u16_e32 vcc_lo, 0x48, v43
	v_fmac_f16_e32 v19, 0xbaee, v23
	v_add_f16_e32 v25, v117, v115
	s_delay_alu instid0(VALU_DEP_4) | instskip(SKIP_2) | instid1(VALU_DEP_1)
	v_add_lshl_u32 v169, v0, v24, 2
	v_add_f16_e32 v0, v109, v113
	v_add_f16_e32 v24, v108, v47
	v_pack_b32_f16 v0, v0, v24
	v_add_f16_e32 v24, v116, v114
	s_delay_alu instid0(VALU_DEP_1) | instskip(SKIP_4) | instid1(VALU_DEP_4)
	v_pack_b32_f16 v120, v24, v25
	v_mul_u32_u24_e32 v24, 0x8889, v90
	v_mul_lo_u16 v25, v91, 20
	v_add_f16_e32 v90, v105, v19
	v_sub_f16_e32 v19, v105, v19
	v_lshrrev_b32_e32 v122, 21, v24
	s_delay_alu instid0(VALU_DEP_4) | instskip(NEXT) | instid1(VALU_DEP_2)
	v_and_b32_e32 v26, 0xffff, v25
	v_mul_lo_u16 v24, v122, 60
	s_delay_alu instid0(VALU_DEP_1) | instskip(NEXT) | instid1(VALU_DEP_1)
	v_sub_nc_u16 v124, v41, v24
	v_mul_lo_u16 v24, v124, 20
	s_delay_alu instid0(VALU_DEP_1) | instskip(NEXT) | instid1(VALU_DEP_1)
	v_and_b32_e32 v24, 0xffff, v24
	v_add_co_u32 v24, s2, s6, v24
	s_wait_alu 0xf1ff
	v_add_co_ci_u32_e64 v25, null, s7, 0, s2
	v_add_co_u32 v26, s2, s6, v26
	s_wait_alu 0xf1ff
	v_add_co_ci_u32_e64 v27, null, s7, 0, s2
	s_clause 0x3
	global_load_b32 v165, v[24:25], off offset:216
	global_load_b32 v168, v[26:27], off offset:216
	global_load_b128 v[246:249], v[26:27], off offset:200
	global_load_b128 v[60:63], v[24:25], off offset:200
	ds_load_2addr_b32 v[58:59], v137 offset0:64 offset1:160
	ds_load_2addr_b32 v[67:68], v129 offset0:128 offset1:224
	;; [unrolled: 1-line block ×3, first 2 shown]
	global_wb scope:SCOPE_SE
	s_wait_loadcnt_dscnt 0x0
	s_barrier_signal -1
	s_barrier_wait -1
	global_inv scope:SCOPE_SE
	ds_store_2addr_b32 v169, v0, v120 offset1:60
	v_mul_f16_e32 v0, -0.5, v23
	v_sub_f16_e32 v23, v109, v113
	v_mov_b32_e32 v25, v143
	s_delay_alu instid0(VALU_DEP_3) | instskip(SKIP_1) | instid1(VALU_DEP_2)
	v_fmac_f16_e32 v0, 0x3aee, v45
	v_sub_f16_e32 v45, v108, v47
	v_add_f16_e32 v47, v102, v0
	s_delay_alu instid0(VALU_DEP_2) | instskip(SKIP_2) | instid1(VALU_DEP_4)
	v_pack_b32_f16 v23, v23, v45
	v_sub_f16_e32 v0, v102, v0
	v_sub_f16_e32 v45, v117, v115
	v_pack_b32_f16 v47, v47, v90
	s_delay_alu instid0(VALU_DEP_3)
	v_pack_b32_f16 v0, v0, v19
	v_add_nc_u32_e32 v19, 0x200, v169
	ds_store_2addr_b32 v169, v47, v23 offset0:120 offset1:180
	v_sub_f16_e32 v23, v116, v114
	v_mul_f16_e32 v47, 0xbaee, v100
	scratch_store_b32 off, v19, off offset:264 ; 4-byte Folded Spill
	v_pack_b32_f16 v23, v23, v45
	v_mul_f16_e32 v45, 0x3aee, v53
	v_fmac_f16_e32 v47, 0.5, v53
	ds_store_2addr_b32 v19, v23, v0 offset0:112 offset1:172
	v_add_f16_e32 v0, v92, v17
	v_add_f16_e32 v17, v17, v88
	;; [unrolled: 1-line block ×3, first 2 shown]
	v_and_b32_e32 v49, 0xffff, v55
	v_add_f16_e32 v23, v101, v96
	v_add_f16_e32 v0, v0, v88
	v_fmac_f16_e32 v92, -0.5, v17
	v_add_f16_e32 v17, v93, v72
	v_mul_u32_u24_e32 v49, 0x168, v49
	v_fmac_f16_e32 v45, 0.5, v100
	v_add_f16_e32 v53, v0, v23
	v_sub_f16_e32 v0, v0, v23
	v_lshrrev_b32_e32 v88, 16, v46
	v_add_lshl_u32 v170, v49, v69, 2
	v_add_f16_e32 v49, v17, v19
	v_sub_f16_e32 v17, v17, v19
	v_add_f16_e32 v55, v94, v45
	s_delay_alu instid0(VALU_DEP_3) | instskip(SKIP_4) | instid1(VALU_DEP_4)
	v_pack_b32_f16 v49, v49, v53
	v_fmamk_f16 v53, v16, 0xbaee, v92
	v_fmac_f16_e32 v92, 0x3aee, v16
	v_mul_f16_e32 v16, -0.5, v97
	v_pack_b32_f16 v0, v17, v0
	v_add_f16_e32 v69, v53, v47
	v_sub_f16_e32 v17, v53, v47
	s_delay_alu instid0(VALU_DEP_4) | instskip(SKIP_1) | instid1(VALU_DEP_4)
	v_fmac_f16_e32 v16, 0xbaee, v51
	v_lshrrev_b32_e32 v47, 16, v52
	v_pack_b32_f16 v55, v55, v69
	s_delay_alu instid0(VALU_DEP_3)
	v_add_f16_e32 v19, v92, v16
	v_sub_f16_e32 v16, v92, v16
	ds_store_2addr_b32 v170, v49, v55 offset1:60
	v_lshrrev_b32_e32 v55, 16, v44
	v_pack_b32_f16 v19, v103, v19
	v_pack_b32_f16 v16, v104, v16
	ds_store_2addr_b32 v170, v19, v0 offset0:120 offset1:180
	v_sub_f16_e32 v0, v94, v45
	v_lshrrev_b32_e32 v19, 16, v50
	s_delay_alu instid0(VALU_DEP_2)
	v_pack_b32_f16 v0, v0, v17
	v_add_nc_u32_e32 v17, 0x200, v170
	ds_store_2addr_b32 v17, v0, v16 offset0:112 offset1:172
	v_lshrrev_b32_e32 v0, 16, v54
	scratch_store_b32 off, v17, off offset:260 ; 4-byte Folded Spill
	v_lshrrev_b32_e32 v24, 16, v168
	v_lshrrev_b32_e32 v120, 16, v248
	;; [unrolled: 1-line block ×5, first 2 shown]
	v_mul_f16_e32 v49, v47, v24
	v_mul_f16_e32 v23, v19, v120
	;; [unrolled: 1-line block ×5, first 2 shown]
	v_fma_f16 v49, v52, v168, -v49
	v_fma_f16 v23, v50, v248, -v23
	v_mul_f16_e32 v50, v52, v24
	v_lshrrev_b32_e32 v52, 16, v68
	v_fma_f16 v16, v54, v246, -v16
	v_fmac_f16_e64 v17, v0, v246
	v_lshrrev_b32_e32 v0, 16, v48
	v_lshrrev_b32_e32 v117, 16, v60
	v_mul_f16_e64 v53, v52, v172
	v_mul_f16_e64 v54, v68, v172
	v_mul_f16_e32 v69, v70, v104
	v_fmac_f16_e64 v45, v19, v248
	v_mul_f16_e32 v19, v0, v117
	v_fma_f16 v53, v68, v61, -v53
	v_lshrrev_b32_e32 v68, 16, v70
	v_lshrrev_b32_e32 v90, 16, v247
	v_fmac_f16_e64 v50, v47, v168
	v_fma_f16 v19, v48, v60, -v19
	v_mul_f16_e32 v47, v48, v117
	v_fmac_f16_e64 v69, v68, v249
	v_mul_f16_e32 v68, v68, v104
	v_lshrrev_b32_e32 v48, 16, v67
	v_mul_f16_e32 v51, v67, v90
	v_lshrrev_b32_e32 v161, 16, v63
	v_lshrrev_b32_e32 v109, 16, v62
	v_fma_f16 v68, v70, v249, -v68
	v_lshrrev_b32_e32 v70, 16, v71
	v_fmac_f16_e64 v51, v48, v247
	v_mul_f16_e32 v48, v48, v90
	v_lshrrev_b32_e32 v24, 16, v165
	v_fmac_f16_e32 v47, v0, v60
	v_mul_f16_e64 v72, v70, v161
	v_fmac_f16_e32 v54, v52, v61
	v_fma_f16 v48, v67, v247, -v48
	v_mul_f16_e32 v67, v55, v109
	v_mul_f16_e32 v92, v88, v24
	v_fma_f16 v72, v71, v63, -v72
	v_mul_f16_e64 v71, v71, v161
	v_lshrrev_b32_e32 v52, 16, v59
	v_fma_f16 v67, v44, v62, -v67
	v_mul_f16_e32 v44, v44, v109
	v_add_f16_e32 v0, v53, v72
	v_fmac_f16_e32 v71, v70, v63
	v_fma_f16 v92, v46, v165, -v92
	v_mul_f16_e32 v46, v46, v24
	v_fmac_f16_e32 v44, v55, v62
	v_add_f16_e32 v55, v59, v53
	v_fmac_f16_e32 v59, -0.5, v0
	v_sub_f16_e32 v0, v54, v71
	v_fmac_f16_e64 v46, v88, v165
	v_add_f16_e32 v88, v19, v67
	v_add_f16_e32 v94, v48, v68
	;; [unrolled: 1-line block ×3, first 2 shown]
	v_fmamk_f16 v70, v0, 0x3aee, v59
	v_fmac_f16_e32 v59, 0xbaee, v0
	v_add_f16_e32 v0, v67, v92
	v_fma_f16 v94, -0.5, v94, v58
	s_delay_alu instid0(VALU_DEP_2) | instskip(SKIP_1) | instid1(VALU_DEP_1)
	v_fmac_f16_e32 v19, -0.5, v0
	v_sub_f16_e32 v0, v44, v46
	v_fmamk_f16 v93, v0, 0x3aee, v19
	v_fmac_f16_e32 v19, 0xbaee, v0
	v_add_f16_e32 v0, v44, v46
	v_add_f16_e32 v44, v47, v44
	s_delay_alu instid0(VALU_DEP_2) | instskip(SKIP_1) | instid1(VALU_DEP_3)
	v_fmac_f16_e32 v47, -0.5, v0
	v_sub_f16_e32 v0, v67, v92
	v_add_f16_e32 v44, v44, v46
	v_mul_f16_e32 v46, 0xbaee, v93
	s_delay_alu instid0(VALU_DEP_3) | instskip(SKIP_2) | instid1(VALU_DEP_3)
	v_fmamk_f16 v67, v0, 0xbaee, v47
	v_fmac_f16_e32 v47, 0x3aee, v0
	v_mul_f16_e32 v0, -0.5, v19
	v_fmac_f16_e32 v46, 0.5, v67
	s_delay_alu instid0(VALU_DEP_2) | instskip(NEXT) | instid1(VALU_DEP_1)
	v_fmac_f16_e32 v0, 0x3aee, v47
	v_add_f16_e32 v96, v59, v0
	v_sub_f16_e32 v0, v59, v0
	v_lshrrev_b32_e32 v59, 16, v58
	v_add_f16_e32 v58, v58, v48
	v_sub_f16_e32 v48, v48, v68
	s_delay_alu instid0(VALU_DEP_3) | instskip(NEXT) | instid1(VALU_DEP_3)
	v_add_f16_e32 v99, v59, v51
	v_add_f16_e32 v58, v58, v68
	;; [unrolled: 1-line block ×3, first 2 shown]
	v_sub_f16_e32 v51, v51, v69
	v_fmac_f16_e32 v59, -0.5, v100
	v_add_f16_e32 v69, v99, v69
	v_add_f16_e32 v99, v17, v45
	v_fmac_f16_e32 v17, -0.5, v68
	v_add_f16_e32 v68, v16, v23
	v_add_f16_e32 v100, v23, v49
	v_sub_f16_e32 v23, v23, v49
	v_sub_f16_e32 v45, v45, v50
	v_add_f16_e32 v50, v99, v50
	v_add_f16_e32 v49, v68, v49
	v_fmac_f16_e32 v16, -0.5, v100
	v_fmamk_f16 v68, v23, 0xbaee, v17
	v_fmac_f16_e32 v17, 0x3aee, v23
	v_add_f16_e32 v91, v69, v50
	v_fmamk_f16 v101, v48, 0xbaee, v59
	v_fmamk_f16 v99, v45, 0x3aee, v16
	v_mul_f16_e32 v100, 0x3aee, v68
	v_fmac_f16_e32 v16, 0xbaee, v45
	v_fmac_f16_e32 v59, 0x3aee, v48
	v_sub_f16_e32 v23, v69, v50
	s_delay_alu instid0(VALU_DEP_4) | instskip(SKIP_2) | instid1(VALU_DEP_2)
	v_fmac_f16_e32 v100, 0.5, v99
	v_mul_f16_e32 v99, 0xbaee, v99
	v_mul_f16_e32 v22, -0.5, v16
	v_fmac_f16_e32 v99, 0.5, v68
	v_add_f16_e32 v68, v58, v49
	s_delay_alu instid0(VALU_DEP_3) | instskip(SKIP_1) | instid1(VALU_DEP_4)
	v_fmac_f16_e32 v22, 0x3aee, v17
	v_mul_f16_e32 v17, -0.5, v17
	v_add_f16_e32 v103, v101, v99
	s_delay_alu instid0(VALU_DEP_4) | instskip(SKIP_4) | instid1(VALU_DEP_4)
	v_pack_b32_f16 v68, v68, v91
	v_fmamk_f16 v91, v51, 0x3aee, v94
	v_fmac_f16_e32 v94, 0xbaee, v51
	v_fmac_f16_e32 v17, 0xbaee, v16
	v_sub_f16_e32 v16, v58, v49
	v_add_f16_e32 v102, v91, v100
	s_delay_alu instid0(VALU_DEP_4) | instskip(NEXT) | instid1(VALU_DEP_4)
	v_add_f16_e32 v45, v94, v22
	v_add_f16_e32 v48, v59, v17
	s_delay_alu instid0(VALU_DEP_4)
	v_pack_b32_f16 v16, v16, v23
	v_sub_f16_e32 v22, v94, v22
	v_sub_f16_e32 v23, v101, v99
	;; [unrolled: 1-line block ×3, first 2 shown]
	v_pack_b32_f16 v45, v45, v48
	v_mad_u16 v48, 0x168, v122, v124
	v_pack_b32_f16 v102, v102, v103
	s_delay_alu instid0(VALU_DEP_4)
	v_pack_b32_f16 v17, v22, v17
	ds_store_2addr_b32 v179, v45, v16 offset0:120 offset1:180
	v_sub_f16_e32 v16, v91, v100
	v_add_nc_u32_e32 v22, 0x200, v179
	v_mul_f16_e32 v45, 0x3aee, v67
	v_and_b32_e32 v48, 0xffff, v48
	ds_store_2addr_b32 v179, v68, v102 offset1:60
	v_pack_b32_f16 v16, v16, v23
	v_add_f16_e32 v23, v88, v92
	scratch_store_b32 off, v22, off offset:276 ; 4-byte Folded Spill
	v_fmac_f16_e32 v45, 0.5, v93
	v_lshlrev_b32_e32 v177, 2, v48
	ds_store_2addr_b32 v22, v16, v17 offset0:112 offset1:172
	v_add_f16_e32 v16, v52, v54
	v_add_f16_e32 v17, v54, v71
	v_sub_f16_e32 v22, v53, v72
	v_add_f16_e32 v51, v70, v45
	s_delay_alu instid0(VALU_DEP_4) | instskip(NEXT) | instid1(VALU_DEP_4)
	v_add_f16_e32 v16, v16, v71
	v_fmac_f16_e32 v52, -0.5, v17
	v_add_f16_e32 v17, v55, v72
	s_delay_alu instid0(VALU_DEP_3) | instskip(SKIP_1) | instid1(VALU_DEP_3)
	v_add_f16_e32 v50, v16, v44
	v_sub_f16_e32 v16, v16, v44
	v_add_f16_e32 v49, v17, v23
	v_sub_f16_e32 v17, v17, v23
	s_delay_alu instid0(VALU_DEP_2) | instskip(SKIP_4) | instid1(VALU_DEP_4)
	v_pack_b32_f16 v49, v49, v50
	v_fmamk_f16 v50, v22, 0xbaee, v52
	v_fmac_f16_e32 v52, 0x3aee, v22
	v_mul_f16_e32 v22, -0.5, v47
	v_pack_b32_f16 v16, v17, v16
	v_sub_f16_e32 v17, v50, v46
	v_add_f16_e32 v53, v50, v46
	s_delay_alu instid0(VALU_DEP_4) | instskip(NEXT) | instid1(VALU_DEP_2)
	v_fmac_f16_e32 v22, 0xbaee, v19
	v_pack_b32_f16 v51, v51, v53
	s_delay_alu instid0(VALU_DEP_2)
	v_add_f16_e32 v19, v52, v22
	ds_store_2addr_b32 v177, v49, v51 offset1:60
	v_pack_b32_f16 v19, v96, v19
	ds_store_2addr_b32 v177, v19, v16 offset0:120 offset1:180
	v_sub_f16_e32 v16, v70, v45
	v_sub_f16_e32 v19, v52, v22
	s_delay_alu instid0(VALU_DEP_2) | instskip(NEXT) | instid1(VALU_DEP_2)
	v_pack_b32_f16 v16, v16, v17
	v_pack_b32_f16 v0, v0, v19
	v_add_nc_u32_e32 v17, 0x200, v177
	ds_store_2addr_b32 v17, v16, v0 offset0:112 offset1:172
	v_add_f16_e32 v0, v8, v4
	v_add_f16_e32 v4, v4, v6
	s_delay_alu instid0(VALU_DEP_2) | instskip(NEXT) | instid1(VALU_DEP_2)
	v_add_f16_e32 v0, v0, v6
	v_fmac_f16_e32 v8, -0.5, v4
	v_add_f16_e32 v4, v9, v5
	v_add_f16_e32 v5, v20, v12
	;; [unrolled: 1-line block ×3, first 2 shown]
	v_mul_f16_e32 v9, 0x3aee, v18
	v_mul_f16_e32 v11, 0xbaee, v21
	s_delay_alu instid0(VALU_DEP_4) | instskip(NEXT) | instid1(VALU_DEP_4)
	v_add_f16_e32 v2, v4, v5
	v_add_f16_e32 v12, v0, v6
	s_delay_alu instid0(VALU_DEP_4) | instskip(NEXT) | instid1(VALU_DEP_4)
	v_fmac_f16_e32 v9, 0.5, v21
	v_fmac_f16_e32 v11, 0.5, v18
	v_sub_f16_e32 v0, v0, v6
	s_delay_alu instid0(VALU_DEP_4) | instskip(SKIP_3) | instid1(VALU_DEP_3)
	v_pack_b32_f16 v2, v2, v12
	v_fmamk_f16 v12, v3, 0xbaee, v8
	v_add_f16_e32 v13, v10, v9
	v_fmac_f16_e32 v8, 0x3aee, v3
	v_add_f16_e32 v16, v12, v11
	s_delay_alu instid0(VALU_DEP_2) | instskip(SKIP_1) | instid1(VALU_DEP_3)
	v_add_f16_e32 v3, v8, v1
	v_sub_f16_e32 v1, v8, v1
	v_pack_b32_f16 v13, v13, v16
	s_delay_alu instid0(VALU_DEP_3) | instskip(NEXT) | instid1(VALU_DEP_3)
	v_pack_b32_f16 v3, v42, v3
	v_pack_b32_f16 v1, v7, v1
	ds_store_2addr_b32 v175, v2, v13 offset1:60
	v_sub_f16_e32 v2, v4, v5
	s_delay_alu instid0(VALU_DEP_1)
	v_pack_b32_f16 v0, v2, v0
	ds_store_2addr_b32 v175, v3, v0 offset0:120 offset1:180
	v_add_co_u32 v0, s2, 0xffffffb8, v123
	s_wait_alu 0xf1ff
	v_add_co_ci_u32_e64 v2, null, 0, -1, s2
	s_wait_alu 0xfffd
	s_delay_alu instid0(VALU_DEP_2) | instskip(SKIP_1) | instid1(VALU_DEP_3)
	v_cndmask_b32_e32 v41, v0, v41, vcc_lo
	v_sub_f16_e32 v0, v10, v9
	v_cndmask_b32_e32 v42, v2, v89, vcc_lo
	v_sub_f16_e32 v2, v12, v11
	s_delay_alu instid0(VALU_DEP_2) | instskip(NEXT) | instid1(VALU_DEP_2)
	v_lshlrev_b64_e32 v[44:45], 2, v[41:42]
	v_pack_b32_f16 v0, v0, v2
	v_add_nc_u32_e32 v2, 0x200, v175
	scratch_store_b32 off, v17, off offset:272 ; 4-byte Folded Spill
	v_add_co_u32 v44, vcc_lo, s6, v44
	scratch_store_b32 off, v2, off offset:268 ; 4-byte Folded Spill
	ds_store_2addr_b32 v2, v0, v1 offset0:112 offset1:172
	v_add_nc_u32_e32 v0, 0x360, v123
	s_wait_alu 0xfffd
	v_add_co_ci_u32_e32 v45, vcc_lo, s7, v45, vcc_lo
	global_wb scope:SCOPE_SE
	s_wait_storecnt_dscnt 0x0
	s_barrier_signal -1
	v_and_b32_e32 v1, 0xffff, v0
	s_barrier_wait -1
	global_inv scope:SCOPE_SE
	global_load_b32 v164, v[44:45], off offset:1400
	v_cmp_lt_u16_e32 vcc_lo, 0x47, v43
	v_mul_u32_u24_e32 v1, 0x2d83, v1
	s_delay_alu instid0(VALU_DEP_1) | instskip(NEXT) | instid1(VALU_DEP_1)
	v_lshrrev_b32_e32 v1, 22, v1
	v_mul_lo_u16 v1, 0x168, v1
	s_delay_alu instid0(VALU_DEP_1) | instskip(SKIP_1) | instid1(VALU_DEP_1)
	v_sub_nc_u16 v45, v0, v1
	v_add_nc_u32_e32 v0, 0x3c0, v123
	v_and_b32_e32 v1, 0xffff, v0
	s_delay_alu instid0(VALU_DEP_1) | instskip(NEXT) | instid1(VALU_DEP_1)
	v_mul_u32_u24_e32 v1, 0x2d83, v1
	v_lshrrev_b32_e32 v1, 22, v1
	s_delay_alu instid0(VALU_DEP_1) | instskip(NEXT) | instid1(VALU_DEP_1)
	v_mul_lo_u16 v1, 0x168, v1
	v_sub_nc_u16 v0, v0, v1
	v_add_co_u32 v1, null, 0x420, v123
	s_delay_alu instid0(VALU_DEP_2) | instskip(NEXT) | instid1(VALU_DEP_2)
	v_and_b32_e32 v0, 0xffff, v0
	v_and_b32_e32 v2, 0xffff, v1
	s_delay_alu instid0(VALU_DEP_2) | instskip(NEXT) | instid1(VALU_DEP_2)
	v_lshlrev_b32_e32 v202, 2, v0
	v_mul_u32_u24_e32 v2, 0x2d83, v2
	s_delay_alu instid0(VALU_DEP_1) | instskip(NEXT) | instid1(VALU_DEP_1)
	v_lshrrev_b32_e32 v42, 22, v2
	v_mul_lo_u16 v2, 0x168, v42
	s_delay_alu instid0(VALU_DEP_1) | instskip(SKIP_1) | instid1(VALU_DEP_1)
	v_sub_nc_u16 v44, v1, v2
	v_add_nc_u32_e32 v1, 0x4e0, v123
	v_and_b32_e32 v2, 0xffff, v1
	s_delay_alu instid0(VALU_DEP_1) | instskip(NEXT) | instid1(VALU_DEP_1)
	v_mul_u32_u24_e32 v2, 0x2d83, v2
	v_lshrrev_b32_e32 v2, 22, v2
	s_delay_alu instid0(VALU_DEP_1) | instskip(NEXT) | instid1(VALU_DEP_1)
	v_mul_lo_u16 v2, 0x168, v2
	v_sub_nc_u16 v1, v1, v2
	v_add_nc_u32_e32 v2, 0x540, v123
	s_delay_alu instid0(VALU_DEP_2) | instskip(NEXT) | instid1(VALU_DEP_2)
	v_and_b32_e32 v1, 0xffff, v1
	v_and_b32_e32 v3, 0xffff, v2
	s_delay_alu instid0(VALU_DEP_2) | instskip(NEXT) | instid1(VALU_DEP_2)
	v_lshlrev_b32_e32 v193, 2, v1
	v_mul_u32_u24_e32 v3, 0x2d83, v3
	s_delay_alu instid0(VALU_DEP_1) | instskip(NEXT) | instid1(VALU_DEP_1)
	v_lshrrev_b32_e32 v3, 22, v3
	v_mul_lo_u16 v3, 0x168, v3
	s_delay_alu instid0(VALU_DEP_1) | instskip(SKIP_3) | instid1(VALU_DEP_3)
	v_sub_nc_u16 v2, v2, v3
	v_add_co_u32 v3, s2, 0x2a0, v123
	s_wait_alu 0xf1ff
	v_add_co_ci_u32_e64 v4, null, 0, 0, s2
	v_and_b32_e32 v2, 0xffff, v2
	s_delay_alu instid0(VALU_DEP_3) | instskip(NEXT) | instid1(VALU_DEP_2)
	v_and_b32_e32 v5, 0xffff, v3
	v_lshlrev_b32_e32 v192, 2, v2
	s_delay_alu instid0(VALU_DEP_2) | instskip(NEXT) | instid1(VALU_DEP_1)
	v_mul_u32_u24_e32 v5, 0x2d83, v5
	v_lshrrev_b32_e32 v5, 22, v5
	s_delay_alu instid0(VALU_DEP_1) | instskip(NEXT) | instid1(VALU_DEP_1)
	v_mul_lo_u16 v6, 0x168, v5
	v_sub_nc_u16 v6, v3, v6
	s_delay_alu instid0(VALU_DEP_1) | instskip(SKIP_1) | instid1(VALU_DEP_2)
	v_and_b32_e32 v7, 0xffff, v6
	v_mad_u16 v5, 0x2d0, v5, v6
	v_lshlrev_b32_e32 v7, 2, v7
	s_clause 0x5
	global_load_b32 v206, v7, s[6:7] offset:1400
	global_load_b32 v138, v128, s[6:7] offset:1400
	;; [unrolled: 1-line block ×6, first 2 shown]
	ds_load_2addr_b32 v[46:47], v127 offset0:64 offset1:160
	ds_load_2addr_b32 v[48:49], v95 offset1:96
	s_clause 0x1
	scratch_store_b32 off, v125, off offset:240
	scratch_store_b32 off, v126, off offset:256
	s_wait_dscnt 0x1
	v_lshrrev_b32_e32 v7, 16, v47
	s_wait_dscnt 0x0
	v_lshrrev_b32_e32 v9, 16, v48
	v_lshrrev_b32_e32 v0, 16, v49
	s_wait_loadcnt 0x6
	v_lshrrev_b32_e32 v136, 16, v164
	s_wait_loadcnt 0x5
	;; [unrolled: 2-line block ×6, first 2 shown]
	v_lshrrev_b32_e32 v97, 16, v70
	v_mul_f16_e32 v8, v47, v103
	s_delay_alu instid0(VALU_DEP_2) | instskip(NEXT) | instid1(VALU_DEP_2)
	v_mul_f16_e32 v10, v48, v97
	v_fmac_f16_e64 v8, v7, v138
	v_mul_f16_e32 v7, v7, v103
	s_delay_alu instid0(VALU_DEP_3) | instskip(SKIP_1) | instid1(VALU_DEP_3)
	v_fmac_f16_e32 v10, v9, v70
	v_mul_f16_e32 v9, v9, v97
	v_fma_f16 v7, v47, v138, -v7
	s_delay_alu instid0(VALU_DEP_2)
	v_fma_f16 v9, v48, v70, -v9
	ds_load_2addr_b32 v[47:48], v128 offset1:96
	s_wait_dscnt 0x0
	v_lshrrev_b32_e32 v11, 16, v47
	v_sub_f16_e32 v7, v47, v7
	v_lshrrev_b32_e32 v12, 16, v48
	v_sub_f16_e32 v9, v48, v9
	s_delay_alu instid0(VALU_DEP_4) | instskip(NEXT) | instid1(VALU_DEP_4)
	v_sub_f16_e32 v8, v11, v8
	v_fma_f16 v13, v47, 2.0, -v7
	s_delay_alu instid0(VALU_DEP_3) | instskip(NEXT) | instid1(VALU_DEP_3)
	v_fma_f16 v14, v48, 2.0, -v9
	v_fma_f16 v11, v11, 2.0, -v8
	v_pack_b32_f16 v7, v7, v8
	v_sub_f16_e32 v8, v12, v10
	s_delay_alu instid0(VALU_DEP_3) | instskip(SKIP_1) | instid1(VALU_DEP_3)
	v_pack_b32_f16 v11, v13, v11
	v_mul_u32_u24_e32 v13, 0x2d83, v126
	v_fma_f16 v10, v12, 2.0, -v8
	v_mul_u32_u24_e32 v12, 0x2d83, v125
	s_delay_alu instid0(VALU_DEP_3) | instskip(NEXT) | instid1(VALU_DEP_3)
	v_lshrrev_b32_e32 v13, 22, v13
	v_pack_b32_f16 v10, v14, v10
	s_delay_alu instid0(VALU_DEP_3) | instskip(SKIP_1) | instid1(VALU_DEP_4)
	v_lshrrev_b32_e32 v12, 22, v12
	v_and_b32_e32 v14, 0xffff, v45
	v_mul_lo_u16 v13, 0x168, v13
	s_delay_alu instid0(VALU_DEP_3) | instskip(NEXT) | instid1(VALU_DEP_3)
	v_mul_lo_u16 v12, 0x168, v12
	v_lshlrev_b32_e32 v201, 2, v14
	s_delay_alu instid0(VALU_DEP_2) | instskip(NEXT) | instid1(VALU_DEP_1)
	v_sub_nc_u16 v12, v125, v12
	v_and_b32_e32 v12, 0xffff, v12
	s_delay_alu instid0(VALU_DEP_1) | instskip(SKIP_3) | instid1(VALU_DEP_3)
	v_lshlrev_b32_e32 v204, 2, v12
	v_sub_nc_u16 v12, v126, v13
	v_and_b32_e32 v13, 0xffff, v44
	v_lshrrev_b32_e32 v126, 16, v208
	v_and_b32_e32 v12, 0xffff, v12
	s_delay_alu instid0(VALU_DEP_3) | instskip(NEXT) | instid1(VALU_DEP_2)
	v_lshlrev_b32_e32 v13, 2, v13
	v_lshlrev_b32_e32 v195, 2, v12
	s_clause 0x7
	global_load_b32 v221, v13, s[6:7] offset:1400
	global_load_b32 v106, v128, s[6:7] offset:2168
	;; [unrolled: 1-line block ×8, first 2 shown]
	ds_load_2addr_b32 v[47:48], v137 offset0:64 offset1:160
	ds_load_2addr_b32 v[50:51], v121 offset0:64 offset1:160
	;; [unrolled: 1-line block ×6, first 2 shown]
	ds_load_2addr_b32 v[71:72], v135 offset1:96
	ds_load_2addr_b32 v[88:89], v118 offset1:96
	ds_load_2addr_b32 v[91:92], v98 offset0:64 offset1:160
	ds_load_2addr_b32 v[93:94], v110 offset0:64 offset1:160
	;; [unrolled: 1-line block ×4, first 2 shown]
	global_wb scope:SCOPE_SE
	s_wait_storecnt 0x0
	s_wait_loadcnt_dscnt 0x0
	s_barrier_signal -1
	s_barrier_wait -1
	global_inv scope:SCOPE_SE
	ds_store_b32 v128, v7 offset:1440
	ds_store_2addr_b32 v128, v11, v10 offset1:96
	v_lshrrev_b32_e32 v12, 16, v52
	v_lshrrev_b32_e32 v10, 16, v54
	v_mul_f16_e64 v11, v54, v244
	v_lshrrev_b32_e32 v13, 16, v53
	v_lshrrev_b32_e32 v45, 16, v92
	s_delay_alu instid0(VALU_DEP_3) | instskip(SKIP_3) | instid1(VALU_DEP_3)
	v_fmac_f16_e64 v11, v10, v216
	v_mul_f16_e64 v10, v10, v244
	v_lshrrev_b32_e32 v17, 16, v101
	v_lshrrev_b32_e32 v19, 16, v102
	v_fma_f16 v10, v54, v216, -v10
	s_delay_alu instid0(VALU_DEP_1) | instskip(NEXT) | instid1(VALU_DEP_1)
	v_sub_f16_e32 v10, v53, v10
	v_fma_f16 v15, v53, 2.0, -v10
	v_lshrrev_b32_e32 v53, 16, v100
	v_lshrrev_b32_e32 v156, 16, v106
	v_lshrrev_b32_e32 v251, 16, v230
	v_lshrrev_b32_e32 v254, 16, v228
	v_lshrrev_b32_e32 v255, 16, v222
	v_lshrrev_b32_e32 v122, 16, v219
	v_mul_f16_e64 v1, v0, v156
	v_mul_f16_e64 v2, v49, v156
	v_lshrrev_b32_e32 v124, 16, v227
	v_lshrrev_b32_e32 v125, 16, v221
	v_mul_f16_e64 v16, v94, v255
	v_fma_f16 v1, v49, v106, -v1
	v_fmac_f16_e32 v2, v0, v106
	v_lshrrev_b32_e32 v0, 16, v47
	v_mul_f16_e32 v21, v101, v122
	v_mul_f16_e32 v18, v17, v122
	v_sub_f16_e32 v1, v47, v1
	v_lshrrev_b32_e32 v146, 16, v217
	v_sub_f16_e32 v2, v0, v2
	v_fmac_f16_e64 v21, v17, v219
	v_lshrrev_b32_e32 v17, 16, v72
	v_fma_f16 v7, v47, 2.0, -v1
	v_mul_f16_e64 v22, v102, v146
	v_fma_f16 v0, v0, 2.0, -v2
	v_mul_f16_e64 v20, v19, v146
	v_fma_f16 v18, v101, v219, -v18
	s_delay_alu instid0(VALU_DEP_4) | instskip(NEXT) | instid1(VALU_DEP_4)
	v_fmac_f16_e64 v22, v19, v217
	v_pack_b32_f16 v0, v7, v0
	v_pack_b32_f16 v7, v9, v8
	v_mul_f16_e64 v8, v50, v136
	v_mul_f16_e64 v9, v51, v139
	v_fma_f16 v20, v102, v217, -v20
	ds_store_b32 v128, v0 offset:768
	v_pack_b32_f16 v0, v1, v2
	v_add_nc_u32_e32 v1, 0x600, v128
	v_lshrrev_b32_e32 v2, 16, v51
	v_sub_f16_e32 v18, v100, v18
	v_sub_f16_e32 v20, v46, v20
	ds_store_2addr_b32 v1, v7, v0 offset0:72 offset1:168
	s_wait_alu 0xfffd
	v_cndmask_b32_e64 v0, 0, 0x2d0, vcc_lo
	v_mov_b32_e32 v28, v1
	v_mul_f16_e64 v7, v2, v139
	v_fmac_f16_e64 v9, v2, v225
	v_cmp_gt_u16_e32 vcc_lo, 48, v43
	v_add_lshl_u32 v141, v41, v0, 2
	v_lshrrev_b32_e32 v0, 16, v50
	v_fma_f16 v7, v51, v225, -v7
	v_lshrrev_b32_e32 v41, 16, v91
	s_delay_alu instid0(VALU_DEP_3) | instskip(SKIP_1) | instid1(VALU_DEP_4)
	v_mul_f16_e64 v1, v0, v136
	v_fmac_f16_e64 v8, v0, v164
	v_sub_f16_e32 v7, v52, v7
	s_delay_alu instid0(VALU_DEP_3) | instskip(NEXT) | instid1(VALU_DEP_2)
	v_fma_f16 v1, v50, v164, -v1
	v_fma_f16 v14, v52, 2.0, -v7
	v_lshrrev_b32_e32 v52, 16, v99
	s_delay_alu instid0(VALU_DEP_3) | instskip(SKIP_1) | instid1(VALU_DEP_2)
	v_sub_f16_e32 v0, v48, v1
	v_lshrrev_b32_e32 v1, 16, v48
	v_fma_f16 v2, v48, 2.0, -v0
	s_delay_alu instid0(VALU_DEP_2) | instskip(NEXT) | instid1(VALU_DEP_1)
	v_sub_f16_e32 v8, v1, v8
	v_fma_f16 v1, v1, 2.0, -v8
	v_pack_b32_f16 v0, v0, v8
	s_delay_alu instid0(VALU_DEP_2)
	v_pack_b32_f16 v1, v2, v1
	v_sub_f16_e32 v2, v12, v9
	v_sub_f16_e32 v9, v13, v11
	ds_store_b32 v141, v1
	ds_store_b32 v141, v0 offset:1440
	v_fma_f16 v8, v12, 2.0, -v2
	v_fma_f16 v11, v13, 2.0, -v9
	v_lshrrev_b32_e32 v0, 16, v55
	v_lshrrev_b32_e32 v13, 16, v94
	s_delay_alu instid0(VALU_DEP_4) | instskip(NEXT) | instid1(VALU_DEP_4)
	v_pack_b32_f16 v8, v14, v8
	v_pack_b32_f16 v11, v15, v11
	s_delay_alu instid0(VALU_DEP_4)
	v_mul_f16_e32 v1, v0, v126
	v_mul_f16_e32 v15, v93, v125
	v_mul_f16_e64 v14, v13, v255
	v_fmac_f16_e64 v16, v13, v222
	ds_store_2addr_b32 v143, v8, v11 offset0:104 offset1:200
	v_mul_f16_e32 v8, v55, v126
	v_fma_f16 v1, v55, v208, -v1
	v_lshrrev_b32_e32 v11, 16, v93
	v_fma_f16 v14, v94, v222, -v14
	v_lshrrev_b32_e32 v13, 16, v71
	v_fmac_f16_e64 v8, v0, v208
	v_pack_b32_f16 v0, v7, v2
	v_lshrrev_b32_e32 v2, 16, v58
	v_sub_f16_e32 v1, v58, v1
	v_mul_f16_e32 v12, v11, v125
	v_fmac_f16_e64 v15, v11, v221
	v_sub_f16_e32 v14, v99, v14
	v_sub_f16_e32 v7, v2, v8
	v_fma_f16 v8, v58, 2.0, -v1
	v_fma_f16 v12, v93, v221, -v12
	v_lshrrev_b32_e32 v58, 16, v46
	v_fma_f16 v54, v99, 2.0, -v14
	v_fma_f16 v2, v2, 2.0, -v7
	v_pack_b32_f16 v1, v1, v7
	v_mul_f16_e64 v7, v68, v251
	v_sub_f16_e32 v12, v92, v12
	v_fma_f16 v55, v100, 2.0, -v18
	v_pack_b32_f16 v2, v8, v2
	v_lshrrev_b32_e32 v8, 16, v89
	v_fma_f16 v46, v46, 2.0, -v20
	v_fma_f16 v51, v92, 2.0, -v12
	ds_store_2addr_b32 v98, v2, v0 offset0:40 offset1:208
	v_add_co_u32 v0, s2, 0xffffffd0, v123
	s_wait_alu 0xf1ff
	v_add_co_ci_u32_e64 v2, null, 0, -1, s2
	s_add_nc_u64 s[2:3], s[4:5], 0x2d00
	s_wait_alu 0xfffd
	v_cndmask_b32_e32 v47, v0, v3, vcc_lo
	v_pack_b32_f16 v0, v10, v9
	v_cndmask_b32_e32 v48, v2, v4, vcc_lo
	v_mul_f16_e64 v4, v67, v252
	v_mul_f16_e32 v10, v89, v124
	v_lshrrev_b32_e32 v2, 16, v68
	ds_store_2addr_b32 v130, v0, v1 offset0:48 offset1:144
	v_lshrrev_b32_e32 v0, 16, v67
	v_mul_f16_e32 v9, v8, v124
	v_fmac_f16_e64 v10, v8, v227
	v_lshrrev_b32_e32 v8, 16, v59
	v_mul_f16_e64 v3, v2, v251
	v_mul_f16_e64 v1, v0, v252
	v_fmac_f16_e64 v4, v0, v206
	v_fmac_f16_e64 v7, v2, v230
	v_lshrrev_b32_e32 v0, 16, v88
	v_mul_f16_e64 v2, v88, v254
	v_fma_f16 v1, v67, v206, -v1
	v_sub_f16_e32 v4, v8, v4
	v_fma_f16 v3, v68, v230, -v3
	v_fma_f16 v9, v89, v227, -v9
	v_fmac_f16_e64 v2, v0, v228
	v_sub_f16_e32 v1, v59, v1
	v_mul_f16_e64 v0, v0, v254
	v_fma_f16 v6, v8, 2.0, -v4
	v_sub_f16_e32 v3, v71, v3
	v_sub_f16_e32 v2, v17, v2
	v_fma_f16 v11, v59, 2.0, -v1
	v_pack_b32_f16 v1, v1, v4
	v_and_b32_e32 v4, 0xffff, v5
	v_fma_f16 v0, v88, v228, -v0
	v_fma_f16 v19, v71, 2.0, -v3
	v_pack_b32_f16 v6, v11, v6
	v_sub_f16_e32 v9, v91, v9
	v_lshlrev_b32_e32 v94, 2, v4
	v_sub_f16_e32 v0, v72, v0
	ds_store_b32 v94, v6
	ds_store_b32 v94, v1 offset:1440
	v_sub_f16_e32 v1, v13, v7
	v_fma_f16 v23, v72, 2.0, -v0
	v_pack_b32_f16 v0, v0, v2
	v_fma_f16 v50, v91, 2.0, -v9
	v_lshlrev_b64_e32 v[48:49], 2, v[47:48]
	v_fma_f16 v4, v13, 2.0, -v1
	v_pack_b32_f16 v1, v3, v1
	v_fma_f16 v3, v17, 2.0, -v2
	v_sub_f16_e32 v2, v41, v10
	s_delay_alu instid0(VALU_DEP_4) | instskip(SKIP_1) | instid1(VALU_DEP_3)
	v_pack_b32_f16 v4, v19, v4
	v_add_co_u32 v48, vcc_lo, s6, v48
	v_fma_f16 v5, v41, 2.0, -v2
	v_pack_b32_f16 v3, v23, v3
	v_pack_b32_f16 v2, v9, v2
	s_wait_alu 0xfffd
	v_add_co_ci_u32_e32 v49, vcc_lo, s7, v49, vcc_lo
	v_pack_b32_f16 v5, v50, v5
	ds_store_b32 v204, v4 offset:5760
	ds_store_b32 v204, v1 offset:7200
	;; [unrolled: 1-line block ×6, first 2 shown]
	v_mad_u16 v0, 0x2d0, v42, v44
	v_sub_f16_e32 v1, v45, v15
	v_sub_f16_e32 v4, v58, v22
	v_cmp_lt_u16_e32 vcc_lo, 47, v43
	s_delay_alu instid0(VALU_DEP_4) | instskip(NEXT) | instid1(VALU_DEP_4)
	v_and_b32_e32 v0, 0xffff, v0
	v_fma_f16 v2, v45, 2.0, -v1
	v_pack_b32_f16 v1, v12, v1
	v_fma_f16 v5, v58, 2.0, -v4
	v_pack_b32_f16 v4, v20, v4
	v_lshlrev_b32_e32 v163, 2, v0
	v_pack_b32_f16 v2, v51, v2
	v_sub_f16_e32 v0, v52, v16
	ds_store_b32 v163, v2
	ds_store_b32 v163, v1 offset:1440
	v_sub_f16_e32 v2, v53, v21
	v_fma_f16 v1, v52, 2.0, -v0
	v_pack_b32_f16 v0, v14, v0
	v_pack_b32_f16 v5, v46, v5
	s_delay_alu instid0(VALU_DEP_4) | instskip(NEXT) | instid1(VALU_DEP_4)
	v_fma_f16 v3, v53, 2.0, -v2
	v_pack_b32_f16 v1, v54, v1
	v_pack_b32_f16 v2, v18, v2
	s_delay_alu instid0(VALU_DEP_3)
	v_pack_b32_f16 v3, v55, v3
	ds_store_b32 v195, v1 offset:8640
	ds_store_b32 v195, v0 offset:10080
	;; [unrolled: 1-line block ×6, first 2 shown]
	global_wb scope:SCOPE_SE
	s_wait_dscnt 0x0
	s_barrier_signal -1
	s_barrier_wait -1
	global_inv scope:SCOPE_SE
	s_clause 0x5
	global_load_b32 v200, v128, s[6:7] offset:2840
	global_load_b32 v182, v128, s[6:7] offset:4184
	;; [unrolled: 1-line block ×6, first 2 shown]
	ds_load_2addr_b32 v[41:42], v127 offset0:64 offset1:160
	ds_load_2addr_b32 v[44:45], v95 offset1:96
	ds_load_2addr_b32 v[50:51], v128 offset1:96
	s_clause 0x8
	global_load_b32 v198, v[48:49], off offset:2840
	global_load_b32 v72, v128, s[6:7] offset:3608
	global_load_b32 v68, v128, s[6:7] offset:3992
	;; [unrolled: 1-line block ×8, first 2 shown]
	s_wait_dscnt 0x2
	v_lshrrev_b32_e32 v0, 16, v42
	s_wait_dscnt 0x1
	v_lshrrev_b32_e32 v2, 16, v44
	;; [unrolled: 2-line block ×3, first 2 shown]
	v_lshrrev_b32_e32 v5, 16, v51
	s_wait_loadcnt 0xe
	v_lshrrev_b32_e32 v143, 16, v200
	s_wait_loadcnt 0xd
	;; [unrolled: 2-line block ×5, first 2 shown]
	v_lshrrev_b32_e32 v150, 16, v232
	v_mul_f16_e64 v1, v42, v143
	v_lshrrev_b32_e32 v89, 16, v67
	s_wait_loadcnt 0x4
	v_lshrrev_b32_e32 v88, 16, v55
	v_lshrrev_b32_e32 v197, 16, v185
	;; [unrolled: 1-line block ×3, first 2 shown]
	v_fmac_f16_e64 v1, v0, v200
	v_mul_f16_e64 v0, v0, v143
	v_mul_f16_e32 v3, v44, v89
	s_wait_loadcnt 0x0
	v_lshrrev_b32_e32 v220, 16, v188
	v_lshrrev_b32_e32 v224, 16, v186
	v_sub_f16_e32 v1, v4, v1
	v_fma_f16 v0, v42, v200, -v0
	v_fmac_f16_e32 v3, v2, v67
	v_mul_f16_e32 v2, v2, v89
	v_lshrrev_b32_e32 v229, 16, v184
	v_fma_f16 v4, v4, 2.0, -v1
	v_sub_f16_e32 v0, v50, v0
	s_delay_alu instid0(VALU_DEP_4) | instskip(NEXT) | instid1(VALU_DEP_2)
	v_fma_f16 v2, v44, v67, -v2
	v_fma_f16 v6, v50, 2.0, -v0
	v_pack_b32_f16 v0, v0, v1
	s_delay_alu instid0(VALU_DEP_3) | instskip(SKIP_1) | instid1(VALU_DEP_4)
	v_sub_f16_e32 v2, v51, v2
	v_sub_f16_e32 v1, v5, v3
	v_pack_b32_f16 v4, v6, v4
	v_lshrrev_b32_e32 v6, 16, v190
	s_delay_alu instid0(VALU_DEP_4) | instskip(NEXT) | instid1(VALU_DEP_4)
	v_fma_f16 v7, v51, 2.0, -v2
	v_fma_f16 v3, v5, 2.0, -v1
	ds_load_2addr_b32 v[48:49], v137 offset0:64 offset1:160
	ds_load_2addr_b32 v[50:51], v121 offset0:64 offset1:160
	ds_load_2addr_b32 v[52:53], v107 offset0:128 offset1:224
	ds_load_2addr_b32 v[91:92], v119 offset0:128 offset1:224
	ds_load_2addr_b32 v[99:100], v191 offset0:64 offset1:160
	ds_load_2addr_b32 v[101:102], v87 offset0:64 offset1:160
	ds_load_2addr_b32 v[111:112], v135 offset1:96
	ds_load_2addr_b32 v[113:114], v118 offset1:96
	ds_load_2addr_b32 v[115:116], v98 offset0:64 offset1:160
	ds_load_2addr_b32 v[153:154], v110 offset0:64 offset1:160
	;; [unrolled: 1-line block ×4, first 2 shown]
	global_wb scope:SCOPE_SE
	s_wait_dscnt 0x0
	s_barrier_signal -1
	s_barrier_wait -1
	v_pack_b32_f16 v3, v7, v3
	global_inv scope:SCOPE_SE
	ds_store_b32 v128, v0 offset:2880
	ds_store_2addr_b32 v128, v4, v3 offset1:96
	v_lshrrev_b32_e32 v0, 16, v45
	v_mul_f16_e32 v4, v45, v69
	s_delay_alu instid0(VALU_DEP_2) | instskip(NEXT) | instid1(VALU_DEP_2)
	v_mul_f16_e32 v3, v0, v69
	v_fmac_f16_e32 v4, v0, v72
	v_pack_b32_f16 v0, v2, v1
	v_lshrrev_b32_e32 v2, 16, v48
	v_lshrrev_b32_e32 v7, 16, v112
	v_fma_f16 v3, v45, v72, -v3
	s_delay_alu instid0(VALU_DEP_1) | instskip(NEXT) | instid1(VALU_DEP_4)
	v_sub_f16_e32 v1, v48, v3
	v_sub_f16_e32 v3, v2, v4
	s_delay_alu instid0(VALU_DEP_1)
	v_pack_b32_f16 v4, v1, v3
	v_fma_f16 v1, v48, 2.0, -v1
	ds_store_2addr_b32 v135, v0, v4 offset0:48 offset1:144
	v_fma_f16 v0, v2, 2.0, -v3
	v_lshrrev_b32_e32 v2, 16, v50
	v_mul_f16_e32 v3, v50, v71
	v_lshrrev_b32_e32 v4, 16, v49
	s_delay_alu instid0(VALU_DEP_4) | instskip(NEXT) | instid1(VALU_DEP_3)
	v_pack_b32_f16 v0, v1, v0
	v_fmac_f16_e32 v3, v2, v68
	v_mul_f16_e32 v2, v2, v71
	s_delay_alu instid0(VALU_DEP_2) | instskip(NEXT) | instid1(VALU_DEP_2)
	v_sub_f16_e32 v1, v4, v3
	v_fma_f16 v2, v50, v68, -v2
	s_delay_alu instid0(VALU_DEP_2) | instskip(NEXT) | instid1(VALU_DEP_2)
	v_fma_f16 v3, v4, 2.0, -v1
	v_sub_f16_e32 v2, v49, v2
	v_mul_f16_e64 v4, v51, v150
	s_delay_alu instid0(VALU_DEP_2) | instskip(NEXT) | instid1(VALU_DEP_1)
	v_fma_f16 v5, v49, 2.0, -v2
	v_pack_b32_f16 v3, v5, v3
	ds_store_2addr_b32 v137, v0, v3 offset0:64 offset1:160
	v_lshrrev_b32_e32 v0, 16, v51
	s_delay_alu instid0(VALU_DEP_1) | instskip(SKIP_3) | instid1(VALU_DEP_4)
	v_mul_f16_e64 v3, v0, v150
	v_fmac_f16_e64 v4, v0, v232
	v_pack_b32_f16 v0, v2, v1
	v_lshrrev_b32_e32 v2, 16, v52
	v_fma_f16 v3, v51, v232, -v3
	s_delay_alu instid0(VALU_DEP_1) | instskip(NEXT) | instid1(VALU_DEP_3)
	v_sub_f16_e32 v1, v52, v3
	v_sub_f16_e32 v3, v2, v4
	s_delay_alu instid0(VALU_DEP_1)
	v_pack_b32_f16 v4, v1, v3
	v_fma_f16 v1, v52, 2.0, -v1
	ds_store_2addr_b32 v98, v0, v4 offset0:112 offset1:208
	v_fma_f16 v0, v2, 2.0, -v3
	v_lshrrev_b32_e32 v2, 16, v91
	v_mul_f16_e32 v3, v91, v88
	v_lshrrev_b32_e32 v4, 16, v53
	s_delay_alu instid0(VALU_DEP_4) | instskip(NEXT) | instid1(VALU_DEP_3)
	v_pack_b32_f16 v0, v1, v0
	v_fmac_f16_e32 v3, v2, v55
	v_mul_f16_e32 v2, v2, v88
	s_delay_alu instid0(VALU_DEP_2) | instskip(NEXT) | instid1(VALU_DEP_2)
	v_sub_f16_e32 v1, v4, v3
	v_fma_f16 v2, v91, v55, -v2
	v_lshrrev_b32_e32 v91, 16, v59
	s_delay_alu instid0(VALU_DEP_3) | instskip(NEXT) | instid1(VALU_DEP_3)
	v_fma_f16 v3, v4, 2.0, -v1
	v_sub_f16_e32 v2, v53, v2
	s_delay_alu instid0(VALU_DEP_3) | instskip(NEXT) | instid1(VALU_DEP_2)
	v_mul_f16_e32 v4, v92, v91
	v_fma_f16 v5, v53, 2.0, -v2
	s_delay_alu instid0(VALU_DEP_1) | instskip(SKIP_3) | instid1(VALU_DEP_1)
	v_pack_b32_f16 v3, v5, v3
	v_mul_f16_e32 v5, v102, v6
	ds_store_2addr_b32 v107, v0, v3 offset0:128 offset1:224
	v_lshrrev_b32_e32 v0, 16, v92
	v_mul_f16_e32 v3, v0, v91
	v_fmac_f16_e32 v4, v0, v59
	v_pack_b32_f16 v0, v2, v1
	v_lshrrev_b32_e32 v1, 16, v99
	s_delay_alu instid0(VALU_DEP_4) | instskip(NEXT) | instid1(VALU_DEP_2)
	v_fma_f16 v3, v92, v59, -v3
	v_sub_f16_e32 v2, v1, v4
	s_delay_alu instid0(VALU_DEP_2) | instskip(NEXT) | instid1(VALU_DEP_2)
	v_sub_f16_e32 v3, v99, v3
	v_fma_f16 v1, v1, 2.0, -v2
	s_delay_alu instid0(VALU_DEP_2) | instskip(SKIP_1) | instid1(VALU_DEP_2)
	v_fma_f16 v4, v99, 2.0, -v3
	v_pack_b32_f16 v2, v3, v2
	v_pack_b32_f16 v1, v4, v1
	ds_store_b32 v128, v1 offset:2304
	ds_store_2addr_b32 v130, v0, v2 offset0:48 offset1:144
	s_wait_alu 0xfffd
	v_cndmask_b32_e64 v0, 0, 0x5a0, vcc_lo
	v_lshrrev_b32_e32 v4, 16, v198
	v_lshrrev_b32_e32 v2, 16, v102
	s_delay_alu instid0(VALU_DEP_3) | instskip(SKIP_1) | instid1(VALU_DEP_3)
	v_add_lshl_u32 v10, v47, v0, 2
	v_lshrrev_b32_e32 v0, 16, v101
	v_mul_f16_e32 v3, v2, v6
	v_fmac_f16_e64 v5, v2, v190
	v_lshrrev_b32_e32 v6, 16, v111
	scratch_store_b32 off, v10, off offset:280 ; 4-byte Folded Spill
	v_mul_f16_e32 v1, v0, v4
	v_mul_f16_e32 v4, v101, v4
	v_fma_f16 v3, v102, v190, -v3
	s_delay_alu instid0(VALU_DEP_3) | instskip(NEXT) | instid1(VALU_DEP_3)
	v_fma_f16 v1, v101, v198, -v1
	v_fmac_f16_e64 v4, v0, v198
	s_delay_alu instid0(VALU_DEP_3) | instskip(NEXT) | instid1(VALU_DEP_3)
	v_sub_f16_e32 v3, v111, v3
	v_sub_f16_e32 v0, v100, v1
	v_lshrrev_b32_e32 v1, 16, v100
	s_delay_alu instid0(VALU_DEP_3) | instskip(NEXT) | instid1(VALU_DEP_3)
	v_fma_f16 v8, v111, 2.0, -v3
	v_fma_f16 v2, v100, 2.0, -v0
	s_delay_alu instid0(VALU_DEP_3) | instskip(NEXT) | instid1(VALU_DEP_1)
	v_sub_f16_e32 v4, v1, v4
	v_fma_f16 v1, v1, 2.0, -v4
	v_pack_b32_f16 v0, v0, v4
	v_mul_f16_e64 v4, v113, v197
	s_delay_alu instid0(VALU_DEP_3)
	v_pack_b32_f16 v1, v2, v1
	v_lshrrev_b32_e32 v2, 16, v113
	ds_store_b32 v10, v1
	ds_store_b32 v10, v0 offset:2880
	v_fmac_f16_e64 v4, v2, v185
	v_mul_f16_e64 v2, v2, v197
	v_sub_f16_e32 v0, v6, v5
	s_delay_alu instid0(VALU_DEP_3) | instskip(NEXT) | instid1(VALU_DEP_3)
	v_sub_f16_e32 v4, v7, v4
	v_fma_f16 v2, v113, v185, -v2
	s_delay_alu instid0(VALU_DEP_3)
	v_fma_f16 v1, v6, 2.0, -v0
	v_add_nc_u32_e32 v6, 0x1600, v128
	v_pack_b32_f16 v0, v3, v0
	v_fma_f16 v5, v7, 2.0, -v4
	v_sub_f16_e32 v2, v112, v2
	v_pack_b32_f16 v1, v8, v1
	v_mov_b32_e32 v26, v6
	s_delay_alu instid0(VALU_DEP_3) | instskip(NEXT) | instid1(VALU_DEP_1)
	v_fma_f16 v9, v112, 2.0, -v2
	v_pack_b32_f16 v5, v9, v5
	ds_store_2addr_b32 v6, v1, v5 offset0:80 offset1:176
	v_lshrrev_b32_e32 v1, 16, v114
	v_mul_f16_e64 v6, v114, v205
	s_delay_alu instid0(VALU_DEP_2) | instskip(NEXT) | instid1(VALU_DEP_2)
	v_mul_f16_e64 v5, v1, v205
	v_fmac_f16_e64 v6, v1, v183
	v_pack_b32_f16 v1, v2, v4
	v_lshrrev_b32_e32 v4, 16, v115
	s_delay_alu instid0(VALU_DEP_4) | instskip(NEXT) | instid1(VALU_DEP_1)
	v_fma_f16 v5, v114, v183, -v5
	v_sub_f16_e32 v2, v115, v5
	s_delay_alu instid0(VALU_DEP_3) | instskip(NEXT) | instid1(VALU_DEP_1)
	v_sub_f16_e32 v5, v4, v6
	v_pack_b32_f16 v6, v2, v5
	v_fma_f16 v2, v115, 2.0, -v2
	ds_store_2addr_b32 v118, v1, v6 offset1:96
	v_fma_f16 v1, v4, 2.0, -v5
	v_lshrrev_b32_e32 v4, 16, v153
	v_mul_f16_e64 v5, v153, v215
	v_lshrrev_b32_e32 v6, 16, v116
	s_delay_alu instid0(VALU_DEP_4) | instskip(NEXT) | instid1(VALU_DEP_3)
	v_pack_b32_f16 v1, v2, v1
	v_fmac_f16_e64 v5, v4, v182
	v_mul_f16_e64 v4, v4, v215
	s_delay_alu instid0(VALU_DEP_2) | instskip(NEXT) | instid1(VALU_DEP_2)
	v_sub_f16_e32 v2, v6, v5
	v_fma_f16 v4, v153, v182, -v4
	s_delay_alu instid0(VALU_DEP_2) | instskip(NEXT) | instid1(VALU_DEP_2)
	v_fma_f16 v5, v6, 2.0, -v2
	v_sub_f16_e32 v4, v116, v4
	v_mul_f16_e64 v6, v154, v220
	s_delay_alu instid0(VALU_DEP_2) | instskip(NEXT) | instid1(VALU_DEP_1)
	v_fma_f16 v7, v116, 2.0, -v4
	v_pack_b32_f16 v5, v7, v5
	ds_store_2addr_b32 v95, v1, v5 offset0:144 offset1:240
	v_lshrrev_b32_e32 v1, 16, v154
	s_delay_alu instid0(VALU_DEP_1) | instskip(SKIP_3) | instid1(VALU_DEP_4)
	v_mul_f16_e64 v5, v1, v220
	v_fmac_f16_e64 v6, v1, v188
	v_pack_b32_f16 v1, v4, v2
	v_lshrrev_b32_e32 v4, 16, v157
	v_fma_f16 v5, v154, v188, -v5
	s_delay_alu instid0(VALU_DEP_1) | instskip(NEXT) | instid1(VALU_DEP_3)
	v_sub_f16_e64 v2, v157, v5
	v_sub_f16_e32 v5, v4, v6
	s_delay_alu instid0(VALU_DEP_1)
	v_pack_b32_f16 v6, v2, v5
	v_fma_f16 v2, v157, 2.0, -v2
	ds_store_2addr_b32 v110, v1, v6 offset0:64 offset1:160
	v_fma_f16 v1, v4, 2.0, -v5
	v_lshrrev_b32_e32 v4, 16, v159
	v_mul_f16_e64 v5, v159, v224
	v_lshrrev_b32_e32 v6, 16, v158
	s_delay_alu instid0(VALU_DEP_4) | instskip(NEXT) | instid1(VALU_DEP_3)
	v_pack_b32_f16 v1, v2, v1
	v_fmac_f16_e64 v5, v4, v186
	v_mul_f16_e64 v4, v4, v224
	s_delay_alu instid0(VALU_DEP_2) | instskip(NEXT) | instid1(VALU_DEP_2)
	v_sub_f16_e32 v2, v6, v5
	v_fma_f16 v4, v159, v186, -v4
	s_delay_alu instid0(VALU_DEP_2) | instskip(NEXT) | instid1(VALU_DEP_2)
	v_fma_f16 v5, v6, 2.0, -v2
	v_sub_f16_e64 v4, v158, v4
	v_mul_f16_e64 v6, v160, v229
	s_delay_alu instid0(VALU_DEP_2) | instskip(NEXT) | instid1(VALU_DEP_1)
	v_fma_f16 v7, v158, 2.0, -v4
	v_pack_b32_f16 v5, v7, v5
	ds_store_2addr_b32 v119, v1, v5 offset0:80 offset1:176
	v_lshrrev_b32_e32 v1, 16, v160
	s_delay_alu instid0(VALU_DEP_1) | instskip(SKIP_1) | instid1(VALU_DEP_2)
	v_mul_f16_e64 v5, v1, v229
	v_fmac_f16_e64 v6, v1, v184
	v_fma_f16 v5, v160, v184, -v5
	s_delay_alu instid0(VALU_DEP_1) | instskip(SKIP_1) | instid1(VALU_DEP_2)
	v_sub_f16_e32 v1, v41, v5
	v_lshrrev_b32_e32 v5, 16, v41
	v_fma_f16 v7, v41, 2.0, -v1
	s_delay_alu instid0(VALU_DEP_2) | instskip(NEXT) | instid1(VALU_DEP_1)
	v_sub_f16_e32 v3, v5, v6
	v_fma_f16 v5, v5, 2.0, -v3
	v_pack_b32_f16 v1, v1, v3
	s_delay_alu instid0(VALU_DEP_2)
	v_pack_b32_f16 v5, v7, v5
	ds_store_2addr_b32 v87, v5, v0 offset0:16 offset1:160
	v_pack_b32_f16 v0, v4, v2
	ds_store_2addr_b32 v85, v0, v1 offset0:128 offset1:224
	global_wb scope:SCOPE_SE
	s_wait_storecnt_dscnt 0x0
	s_barrier_signal -1
	s_barrier_wait -1
	global_inv scope:SCOPE_SE
	s_clause 0x7
	global_load_b32 v181, v128, s[6:7] offset:5720
	global_load_b32 v218, v128, s[6:7] offset:6104
	;; [unrolled: 1-line block ×8, first 2 shown]
	ds_load_2addr_b32 v[41:42], v127 offset0:64 offset1:160
	ds_load_2addr_b32 v[44:45], v128 offset1:96
	s_wait_dscnt 0x1
	v_lshrrev_b32_e32 v0, 16, v42
	s_wait_dscnt 0x0
	v_lshrrev_b32_e32 v4, 16, v44
	s_wait_loadcnt 0x7
	v_lshrrev_b32_e32 v151, 16, v181
	s_wait_loadcnt 0x6
	;; [unrolled: 2-line block ×5, first 2 shown]
	v_lshrrev_b32_e32 v154, 16, v58
	v_mul_f16_e64 v1, v42, v151
	s_wait_loadcnt 0x2
	v_lshrrev_b32_e32 v153, 16, v174
	s_wait_loadcnt 0x1
	v_lshrrev_b32_e32 v157, 16, v99
	;; [unrolled: 2-line block ×3, first 2 shown]
	v_fmac_f16_e64 v1, v0, v181
	v_mul_f16_e64 v0, v0, v151
	s_delay_alu instid0(VALU_DEP_2) | instskip(NEXT) | instid1(VALU_DEP_2)
	v_sub_f16_e32 v1, v4, v1
	v_fma_f16 v0, v42, v181, -v0
	ds_load_2addr_b32 v[42:43], v95 offset1:96
	v_fma_f16 v4, v4, 2.0, -v1
	v_sub_f16_e32 v0, v44, v0
	s_delay_alu instid0(VALU_DEP_1)
	v_pack_b32_f16 v1, v0, v1
	v_fma_f16 v0, v44, 2.0, -v0
	ds_store_b32 v128, v1 offset:5760
	v_pack_b32_f16 v9, v0, v4
	s_wait_dscnt 0x1
	v_lshrrev_b32_e32 v2, 16, v42
	v_mul_f16_e64 v3, v42, v145
	v_mul_f16_e32 v12, v43, v92
	s_delay_alu instid0(VALU_DEP_2) | instskip(SKIP_1) | instid1(VALU_DEP_1)
	v_fmac_f16_e64 v3, v2, v218
	v_mul_f16_e64 v2, v2, v145
	v_fma_f16 v2, v42, v218, -v2
	s_delay_alu instid0(VALU_DEP_1) | instskip(SKIP_1) | instid1(VALU_DEP_2)
	v_sub_f16_e32 v8, v45, v2
	v_lshrrev_b32_e32 v2, 16, v45
	v_fma_f16 v5, v45, 2.0, -v8
	s_delay_alu instid0(VALU_DEP_2) | instskip(NEXT) | instid1(VALU_DEP_1)
	v_sub_f16_e32 v10, v2, v3
	v_fma_f16 v0, v2, 2.0, -v10
	v_pack_b32_f16 v8, v8, v10
	s_delay_alu instid0(VALU_DEP_2)
	v_pack_b32_f16 v11, v5, v0
	ds_load_2addr_b32 v[44:45], v137 offset0:64 offset1:160
	ds_load_2addr_b32 v[46:47], v121 offset0:64 offset1:160
	;; [unrolled: 1-line block ×6, first 2 shown]
	ds_load_2addr_b32 v[113:114], v135 offset1:96
	ds_load_2addr_b32 v[115:116], v118 offset1:96
	ds_load_2addr_b32 v[0:1], v98 offset0:64 offset1:160
	ds_load_2addr_b32 v[2:3], v110 offset0:64 offset1:160
	ds_load_2addr_b32 v[4:5], v129 offset0:128 offset1:224
	ds_load_2addr_b32 v[6:7], v85 offset0:128 offset1:224
	ds_store_2addr_b32 v128, v9, v11 offset1:96
	v_lshrrev_b32_e32 v9, 16, v43
	s_wait_dscnt 0xc
	v_lshrrev_b32_e32 v10, 16, v44
	s_delay_alu instid0(VALU_DEP_2) | instskip(SKIP_1) | instid1(VALU_DEP_2)
	v_mul_f16_e32 v11, v9, v92
	v_fmac_f16_e64 v12, v9, v250
	v_fma_f16 v11, v43, v250, -v11
	s_delay_alu instid0(VALU_DEP_1) | instskip(NEXT) | instid1(VALU_DEP_3)
	v_sub_f16_e32 v9, v44, v11
	v_sub_f16_e32 v11, v10, v12
	s_delay_alu instid0(VALU_DEP_1)
	v_pack_b32_f16 v12, v9, v11
	v_fma_f16 v9, v44, 2.0, -v9
	ds_store_2addr_b32 v95, v8, v12 offset1:96
	v_fma_f16 v8, v10, 2.0, -v11
	s_wait_dscnt 0xc
	v_lshrrev_b32_e32 v10, 16, v46
	v_mul_f16_e32 v11, v46, v93
	v_lshrrev_b32_e32 v12, 16, v45
	v_pack_b32_f16 v8, v9, v8
	s_delay_alu instid0(VALU_DEP_3) | instskip(SKIP_1) | instid1(VALU_DEP_2)
	v_fmac_f16_e64 v11, v10, v253
	v_mul_f16_e32 v10, v10, v93
	v_sub_f16_e32 v9, v12, v11
	s_delay_alu instid0(VALU_DEP_2) | instskip(NEXT) | instid1(VALU_DEP_2)
	v_fma_f16 v10, v46, v253, -v10
	v_fma_f16 v11, v12, 2.0, -v9
	s_delay_alu instid0(VALU_DEP_2) | instskip(SKIP_1) | instid1(VALU_DEP_2)
	v_sub_f16_e32 v10, v45, v10
	v_mul_f16_e64 v12, v47, v154
	v_fma_f16 v13, v45, 2.0, -v10
	s_delay_alu instid0(VALU_DEP_1) | instskip(SKIP_2) | instid1(VALU_DEP_1)
	v_pack_b32_f16 v11, v13, v11
	ds_store_2addr_b32 v137, v8, v11 offset0:64 offset1:160
	v_lshrrev_b32_e32 v8, 16, v47
	v_mul_f16_e64 v11, v8, v154
	v_fmac_f16_e32 v12, v8, v58
	v_pack_b32_f16 v8, v10, v9
	s_wait_dscnt 0xc
	v_lshrrev_b32_e32 v10, 16, v48
	v_fma_f16 v11, v47, v58, -v11
	s_delay_alu instid0(VALU_DEP_1) | instskip(NEXT) | instid1(VALU_DEP_3)
	v_sub_f16_e32 v9, v48, v11
	v_sub_f16_e32 v11, v10, v12
	s_delay_alu instid0(VALU_DEP_1)
	v_pack_b32_f16 v12, v9, v11
	v_fma_f16 v9, v48, 2.0, -v9
	ds_store_2addr_b32 v121, v8, v12 offset0:64 offset1:160
	v_fma_f16 v8, v10, 2.0, -v11
	s_wait_dscnt 0xc
	v_lshrrev_b32_e32 v10, 16, v50
	v_mul_f16_e64 v11, v50, v153
	v_lshrrev_b32_e32 v12, 16, v49
	v_pack_b32_f16 v8, v9, v8
	s_delay_alu instid0(VALU_DEP_3) | instskip(SKIP_1) | instid1(VALU_DEP_2)
	v_fmac_f16_e64 v11, v10, v174
	v_mul_f16_e64 v10, v10, v153
	v_sub_f16_e32 v9, v12, v11
	s_delay_alu instid0(VALU_DEP_2) | instskip(NEXT) | instid1(VALU_DEP_2)
	v_fma_f16 v10, v50, v174, -v10
	v_fma_f16 v11, v12, 2.0, -v9
	s_delay_alu instid0(VALU_DEP_2) | instskip(SKIP_1) | instid1(VALU_DEP_2)
	v_sub_f16_e32 v10, v49, v10
	v_mul_f16_e64 v12, v51, v157
	v_fma_f16 v13, v49, 2.0, -v10
	s_delay_alu instid0(VALU_DEP_1) | instskip(SKIP_2) | instid1(VALU_DEP_1)
	v_pack_b32_f16 v11, v13, v11
	ds_store_2addr_b32 v107, v8, v11 offset0:128 offset1:224
	v_lshrrev_b32_e32 v8, 16, v51
	v_mul_f16_e64 v11, v8, v157
	v_fmac_f16_e32 v12, v8, v99
	v_pack_b32_f16 v8, v10, v9
	s_wait_dscnt 0xc
	v_lshrrev_b32_e32 v10, 16, v52
	v_fma_f16 v11, v51, v99, -v11
	s_delay_alu instid0(VALU_DEP_1) | instskip(NEXT) | instid1(VALU_DEP_3)
	v_sub_f16_e32 v9, v52, v11
	v_sub_f16_e32 v11, v10, v12
	s_delay_alu instid0(VALU_DEP_1)
	v_pack_b32_f16 v12, v9, v11
	v_fma_f16 v9, v52, 2.0, -v9
	ds_store_2addr_b32 v119, v8, v12 offset0:128 offset1:224
	v_fma_f16 v8, v10, 2.0, -v11
	s_wait_dscnt 0xc
	v_lshrrev_b32_e32 v10, 16, v111
	v_mul_f16_e32 v11, v111, v96
	v_lshrrev_b32_e32 v12, 16, v53
	v_pack_b32_f16 v8, v9, v8
	s_delay_alu instid0(VALU_DEP_3) | instskip(SKIP_1) | instid1(VALU_DEP_2)
	v_fmac_f16_e64 v11, v10, v178
	v_mul_f16_e32 v10, v10, v96
	v_sub_f16_e32 v9, v12, v11
	s_delay_alu instid0(VALU_DEP_2) | instskip(NEXT) | instid1(VALU_DEP_2)
	v_fma_f16 v10, v111, v178, -v10
	v_fma_f16 v11, v12, 2.0, -v9
	s_delay_alu instid0(VALU_DEP_2) | instskip(NEXT) | instid1(VALU_DEP_1)
	v_sub_f16_e32 v10, v53, v10
	v_fma_f16 v13, v53, 2.0, -v10
	s_delay_alu instid0(VALU_DEP_1)
	v_pack_b32_f16 v11, v13, v11
	ds_store_2addr_b32 v191, v8, v11 offset0:64 offset1:160
	s_clause 0x6
	global_load_b32 v155, v128, s[6:7] offset:8792
	global_load_b32 v158, v128, s[6:7] offset:9176
	;; [unrolled: 1-line block ×7, first 2 shown]
	v_lshrrev_b32_e32 v8, 16, v112
	s_wait_loadcnt 0x6
	v_lshrrev_b32_e32 v108, 16, v155
	s_wait_loadcnt 0x5
	v_lshrrev_b32_e32 v111, 16, v158
	s_delay_alu instid0(VALU_DEP_2) | instskip(SKIP_1) | instid1(VALU_DEP_2)
	v_mul_f16_e32 v11, v8, v108
	v_mul_f16_e32 v12, v112, v108
	v_fma_f16 v11, v112, v155, -v11
	s_delay_alu instid0(VALU_DEP_2)
	v_fmac_f16_e64 v12, v8, v155
	v_pack_b32_f16 v8, v10, v9
	s_wait_dscnt 0xc
	v_lshrrev_b32_e32 v10, 16, v113
	s_wait_loadcnt 0x4
	v_lshrrev_b32_e32 v112, 16, v159
	v_sub_f16_e32 v9, v113, v11
	s_delay_alu instid0(VALU_DEP_3) | instskip(NEXT) | instid1(VALU_DEP_1)
	v_sub_f16_e32 v11, v10, v12
	v_pack_b32_f16 v12, v9, v11
	v_fma_f16 v9, v113, 2.0, -v9
	s_wait_loadcnt 0x3
	v_lshrrev_b32_e32 v113, 16, v160
	ds_store_2addr_b32 v87, v8, v12 offset0:64 offset1:160
	v_fma_f16 v8, v10, 2.0, -v11
	s_wait_dscnt 0xc
	v_lshrrev_b32_e32 v10, 16, v115
	v_mul_f16_e32 v11, v115, v111
	v_lshrrev_b32_e32 v12, 16, v114
	v_pack_b32_f16 v8, v9, v8
	s_delay_alu instid0(VALU_DEP_3) | instskip(SKIP_1) | instid1(VALU_DEP_2)
	v_fmac_f16_e64 v11, v10, v158
	v_mul_f16_e32 v10, v10, v111
	v_sub_f16_e32 v9, v12, v11
	s_delay_alu instid0(VALU_DEP_2) | instskip(SKIP_2) | instid1(VALU_DEP_3)
	v_fma_f16 v10, v115, v158, -v10
	s_wait_loadcnt 0x2
	v_lshrrev_b32_e32 v115, 16, v100
	v_fma_f16 v11, v12, 2.0, -v9
	s_delay_alu instid0(VALU_DEP_3) | instskip(SKIP_1) | instid1(VALU_DEP_2)
	v_sub_f16_e32 v10, v114, v10
	v_mul_f16_e32 v12, v116, v112
	v_fma_f16 v13, v114, 2.0, -v10
	s_wait_loadcnt 0x1
	v_lshrrev_b32_e32 v114, 16, v101
	s_delay_alu instid0(VALU_DEP_2) | instskip(SKIP_2) | instid1(VALU_DEP_1)
	v_pack_b32_f16 v11, v13, v11
	ds_store_2addr_b32 v135, v8, v11 offset1:96
	v_lshrrev_b32_e32 v8, 16, v116
	v_mul_f16_e32 v11, v8, v112
	v_fmac_f16_e64 v12, v8, v159
	v_pack_b32_f16 v8, v10, v9
	s_wait_dscnt 0xc
	v_lshrrev_b32_e32 v10, 16, v0
	v_fma_f16 v11, v116, v159, -v11
	s_wait_loadcnt 0x0
	v_lshrrev_b32_e32 v116, 16, v102
	s_delay_alu instid0(VALU_DEP_2) | instskip(SKIP_1) | instid1(VALU_DEP_2)
	v_sub_f16_e32 v9, v0, v11
	v_sub_f16_e32 v11, v10, v12
	v_fma_f16 v0, v0, 2.0, -v9
	s_delay_alu instid0(VALU_DEP_2)
	v_pack_b32_f16 v12, v9, v11
	v_lshrrev_b32_e32 v9, 16, v1
	ds_store_2addr_b32 v118, v8, v12 offset1:96
	v_fma_f16 v8, v10, 2.0, -v11
	s_wait_dscnt 0xc
	v_lshrrev_b32_e32 v10, 16, v2
	v_mul_f16_e32 v11, v2, v113
	s_delay_alu instid0(VALU_DEP_3) | instskip(NEXT) | instid1(VALU_DEP_2)
	v_pack_b32_f16 v0, v0, v8
	v_fmac_f16_e64 v11, v10, v160
	v_mul_f16_e32 v10, v10, v113
	s_delay_alu instid0(VALU_DEP_2) | instskip(NEXT) | instid1(VALU_DEP_2)
	v_sub_f16_e32 v8, v9, v11
	v_fma_f16 v2, v2, v160, -v10
	s_delay_alu instid0(VALU_DEP_2) | instskip(NEXT) | instid1(VALU_DEP_2)
	v_fma_f16 v9, v9, 2.0, -v8
	v_sub_f16_e32 v2, v1, v2
	s_delay_alu instid0(VALU_DEP_1) | instskip(NEXT) | instid1(VALU_DEP_1)
	v_fma_f16 v1, v1, 2.0, -v2
	v_pack_b32_f16 v1, v1, v9
	ds_store_2addr_b32 v98, v0, v1 offset0:64 offset1:160
	v_lshrrev_b32_e32 v0, 16, v3
	s_delay_alu instid0(VALU_DEP_1) | instskip(NEXT) | instid1(VALU_DEP_1)
	v_mul_f16_e32 v1, v0, v115
	v_fma_f16 v1, v3, v100, -v1
	v_mul_f16_e32 v3, v3, v115
	s_wait_dscnt 0xc
	s_delay_alu instid0(VALU_DEP_2) | instskip(NEXT) | instid1(VALU_DEP_2)
	v_sub_f16_e32 v1, v4, v1
	v_fmac_f16_e32 v3, v0, v100
	v_pack_b32_f16 v0, v2, v8
	v_lshrrev_b32_e32 v2, 16, v4
	s_delay_alu instid0(VALU_DEP_1) | instskip(NEXT) | instid1(VALU_DEP_1)
	v_sub_f16_e32 v3, v2, v3
	v_pack_b32_f16 v8, v1, v3
	v_fma_f16 v1, v4, 2.0, -v1
	v_lshrrev_b32_e32 v4, 16, v5
	ds_store_2addr_b32 v110, v0, v8 offset0:64 offset1:160
	v_fma_f16 v0, v2, 2.0, -v3
	s_wait_dscnt 0xc
	v_lshrrev_b32_e32 v2, 16, v6
	v_mul_f16_e32 v3, v6, v114
	s_delay_alu instid0(VALU_DEP_3) | instskip(NEXT) | instid1(VALU_DEP_2)
	v_pack_b32_f16 v0, v1, v0
	v_fmac_f16_e32 v3, v2, v101
	v_mul_f16_e32 v2, v2, v114
	s_delay_alu instid0(VALU_DEP_2) | instskip(NEXT) | instid1(VALU_DEP_2)
	v_sub_f16_e32 v1, v4, v3
	v_fma_f16 v2, v6, v101, -v2
	s_delay_alu instid0(VALU_DEP_2) | instskip(NEXT) | instid1(VALU_DEP_2)
	v_fma_f16 v3, v4, 2.0, -v1
	v_sub_f16_e32 v2, v5, v2
	v_mul_f16_e32 v4, v7, v116
	s_delay_alu instid0(VALU_DEP_2) | instskip(SKIP_1) | instid1(VALU_DEP_2)
	v_fma_f16 v5, v5, 2.0, -v2
	v_pack_b32_f16 v1, v2, v1
	v_pack_b32_f16 v3, v5, v3
	ds_store_2addr_b32 v129, v0, v3 offset0:128 offset1:224
	v_lshrrev_b32_e32 v0, 16, v7
	s_delay_alu instid0(VALU_DEP_1) | instskip(SKIP_1) | instid1(VALU_DEP_2)
	v_mul_f16_e32 v3, v0, v116
	v_fmac_f16_e32 v4, v0, v102
	v_fma_f16 v3, v7, v102, -v3
	s_delay_alu instid0(VALU_DEP_1) | instskip(SKIP_1) | instid1(VALU_DEP_2)
	v_sub_f16_e32 v0, v41, v3
	v_lshrrev_b32_e32 v3, 16, v41
	v_fma_f16 v5, v41, 2.0, -v0
	s_delay_alu instid0(VALU_DEP_2) | instskip(NEXT) | instid1(VALU_DEP_1)
	v_sub_f16_e32 v2, v3, v4
	v_pack_b32_f16 v0, v0, v2
	ds_store_2addr_b32 v85, v1, v0 offset0:128 offset1:224
	v_fma_f16 v0, v3, 2.0, -v2
	s_delay_alu instid0(VALU_DEP_1)
	v_pack_b32_f16 v0, v5, v0
	ds_store_b32 v128, v0 offset:5376
	global_wb scope:SCOPE_SE
	s_wait_dscnt 0x0
	s_barrier_signal -1
	s_barrier_wait -1
	global_inv scope:SCOPE_SE
	s_clause 0x1
	global_load_b32 v2, v128, s[4:5] offset:11520
	global_load_b32 v7, v128, s[2:3] offset:11136
	ds_load_2addr_b32 v[0:1], v128 offset1:96
	s_wait_dscnt 0x0
	v_lshrrev_b32_e32 v4, 16, v0
	s_wait_loadcnt 0x1
	v_lshrrev_b32_e32 v3, 16, v2
	s_delay_alu instid0(VALU_DEP_1) | instskip(NEXT) | instid1(VALU_DEP_3)
	v_mul_f16_e32 v5, v0, v3
	v_mul_f16_e32 v3, v4, v3
	s_delay_alu instid0(VALU_DEP_2) | instskip(NEXT) | instid1(VALU_DEP_2)
	v_fmac_f16_e32 v5, v4, v2
	v_fma_f16 v0, v0, v2, -v3
	s_delay_alu instid0(VALU_DEP_1)
	v_pack_b32_f16 v0, v0, v5
	ds_store_b32 v128, v0
	s_clause 0x4
	global_load_b32 v0, v128, s[2:3] offset:8064
	global_load_b32 v5, v128, s[2:3] offset:8448
	;; [unrolled: 1-line block ×5, first 2 shown]
	ds_load_2addr_b32 v[14:15], v119 offset0:128 offset1:224
	s_wait_dscnt 0x0
	v_lshrrev_b32_e32 v10, 16, v15
	s_wait_loadcnt 0x4
	v_lshrrev_b32_e32 v4, 16, v0
	s_delay_alu instid0(VALU_DEP_1) | instskip(NEXT) | instid1(VALU_DEP_3)
	v_mul_f16_e32 v11, v15, v4
	v_mul_f16_e32 v4, v10, v4
	s_delay_alu instid0(VALU_DEP_2) | instskip(NEXT) | instid1(VALU_DEP_2)
	v_fmac_f16_e32 v11, v10, v0
	v_fma_f16 v0, v15, v0, -v4
	ds_load_2addr_b32 v[3:4], v87 offset0:64 offset1:160
	s_wait_loadcnt 0x3
	v_lshrrev_b32_e32 v10, 16, v5
	v_pack_b32_f16 v0, v0, v11
	s_wait_dscnt 0x0
	v_lshrrev_b32_e32 v12, 16, v3
	s_delay_alu instid0(VALU_DEP_3) | instskip(NEXT) | instid1(VALU_DEP_2)
	v_mul_f16_e32 v13, v3, v10
	v_mul_f16_e32 v10, v12, v10
	s_delay_alu instid0(VALU_DEP_2) | instskip(NEXT) | instid1(VALU_DEP_2)
	v_fmac_f16_e32 v13, v12, v5
	v_fma_f16 v3, v3, v5, -v10
	v_add_nc_u32_e32 v5, 0x1e00, v128
	s_delay_alu instid0(VALU_DEP_2) | instskip(SKIP_4) | instid1(VALU_DEP_1)
	v_pack_b32_f16 v3, v3, v13
	ds_store_2addr_b32 v5, v0, v3 offset0:96 offset1:192
	v_lshrrev_b32_e32 v0, 16, v4
	s_wait_loadcnt 0x2
	v_lshrrev_b32_e32 v3, 16, v6
	v_mul_f16_e32 v5, v0, v3
	v_mul_f16_e32 v10, v4, v3
	s_delay_alu instid0(VALU_DEP_2)
	v_fma_f16 v5, v4, v6, -v5
	ds_load_2addr_b32 v[3:4], v118 offset1:96
	v_fmac_f16_e32 v10, v0, v6
	s_wait_loadcnt 0x1
	v_lshrrev_b32_e32 v0, 16, v8
	s_wait_dscnt 0x0
	v_lshrrev_b32_e32 v6, 16, v3
	s_delay_alu instid0(VALU_DEP_2) | instskip(NEXT) | instid1(VALU_DEP_2)
	v_mul_f16_e32 v11, v3, v0
	v_mul_f16_e32 v0, v6, v0
	s_delay_alu instid0(VALU_DEP_2) | instskip(NEXT) | instid1(VALU_DEP_2)
	v_fmac_f16_e32 v11, v6, v8
	v_fma_f16 v0, v3, v8, -v0
	v_pack_b32_f16 v3, v5, v10
	v_add_nc_u32_e32 v5, 0x2200, v128
	s_delay_alu instid0(VALU_DEP_3)
	v_pack_b32_f16 v0, v0, v11
	ds_store_2addr_b32 v5, v3, v0 offset0:32 offset1:128
	global_load_b32 v0, v128, s[2:3] offset:384
	v_lshrrev_b32_e32 v3, 16, v1
	s_clause 0x4
	global_load_b32 v8, v128, s[2:3] offset:1536
	global_load_b32 v10, v128, s[2:3] offset:2688
	;; [unrolled: 1-line block ×5, first 2 shown]
	ds_load_2addr_b32 v[41:42], v191 offset0:64 offset1:160
	s_wait_loadcnt 0x5
	v_lshrrev_b32_e32 v5, 16, v0
	s_delay_alu instid0(VALU_DEP_1) | instskip(SKIP_1) | instid1(VALU_DEP_2)
	v_mul_f16_e32 v15, v1, v5
	v_mul_f16_e32 v6, v3, v5
	v_fmac_f16_e32 v15, v3, v0
	global_load_b32 v3, v128, s[2:3] offset:1152
	v_fma_f16 v24, v1, v0, -v6
	ds_load_2addr_b32 v[0:1], v137 offset0:64 offset1:160
	s_wait_dscnt 0x0
	v_lshrrev_b32_e32 v6, 16, v1
	s_wait_loadcnt 0x0
	v_lshrrev_b32_e32 v5, 16, v3
	s_delay_alu instid0(VALU_DEP_1) | instskip(NEXT) | instid1(VALU_DEP_3)
	v_mul_f16_e32 v16, v1, v5
	v_mul_f16_e32 v5, v6, v5
	s_delay_alu instid0(VALU_DEP_2) | instskip(NEXT) | instid1(VALU_DEP_2)
	v_fmac_f16_e32 v16, v6, v3
	v_fma_f16 v1, v1, v3, -v5
	ds_load_2addr_b32 v[5:6], v107 offset0:128 offset1:224
	v_lshrrev_b32_e32 v3, 16, v8
	v_pack_b32_f16 v1, v1, v16
	s_wait_dscnt 0x0
	v_lshrrev_b32_e32 v17, 16, v5
	s_delay_alu instid0(VALU_DEP_3) | instskip(NEXT) | instid1(VALU_DEP_2)
	v_mul_f16_e32 v18, v5, v3
	v_mul_f16_e32 v3, v17, v3
	s_delay_alu instid0(VALU_DEP_2) | instskip(NEXT) | instid1(VALU_DEP_2)
	v_fmac_f16_e32 v18, v17, v8
	v_fma_f16 v3, v5, v8, -v3
	v_lshrrev_b32_e32 v5, 16, v41
	s_delay_alu instid0(VALU_DEP_2) | instskip(SKIP_4) | instid1(VALU_DEP_1)
	v_pack_b32_f16 v3, v3, v18
	ds_store_2addr_b32 v107, v1, v3 offset0:32 offset1:128
	global_load_b32 v1, v128, s[2:3] offset:2304
	s_wait_loadcnt 0x0
	v_lshrrev_b32_e32 v3, 16, v1
	v_mul_f16_e32 v8, v41, v3
	v_mul_f16_e32 v3, v5, v3
	s_delay_alu instid0(VALU_DEP_2) | instskip(NEXT) | instid1(VALU_DEP_2)
	v_fmac_f16_e32 v8, v5, v1
	v_fma_f16 v5, v41, v1, -v3
	v_lshrrev_b32_e32 v1, 16, v42
	v_lshrrev_b32_e32 v3, 16, v10
	s_delay_alu instid0(VALU_DEP_1) | instskip(SKIP_1) | instid1(VALU_DEP_2)
	v_mul_f16_e32 v16, v1, v3
	v_mul_f16_e32 v17, v42, v3
	v_fma_f16 v16, v42, v10, -v16
	s_delay_alu instid0(VALU_DEP_2)
	v_fmac_f16_e32 v17, v1, v10
	s_clause 0x5
	global_load_b32 v1, v128, s[2:3] offset:3456
	global_load_b32 v3, v128, s[2:3] offset:3840
	;; [unrolled: 1-line block ×6, first 2 shown]
	ds_load_2addr_b32 v[41:42], v135 offset1:96
	s_wait_dscnt 0x0
	v_lshrrev_b32_e32 v22, 16, v42
	s_wait_loadcnt 0x5
	v_lshrrev_b32_e32 v21, 16, v1
	s_delay_alu instid0(VALU_DEP_1) | instskip(NEXT) | instid1(VALU_DEP_3)
	v_mul_f16_e32 v23, v42, v21
	v_mul_f16_e32 v21, v22, v21
	s_delay_alu instid0(VALU_DEP_2) | instskip(NEXT) | instid1(VALU_DEP_2)
	v_fmac_f16_e32 v23, v22, v1
	v_fma_f16 v1, v42, v1, -v21
	ds_load_2addr_b32 v[42:43], v98 offset0:64 offset1:160
	s_wait_loadcnt 0x4
	v_lshrrev_b32_e32 v21, 16, v3
	v_pack_b32_f16 v1, v1, v23
	s_wait_dscnt 0x0
	v_lshrrev_b32_e32 v22, 16, v42
	s_delay_alu instid0(VALU_DEP_3) | instskip(NEXT) | instid1(VALU_DEP_2)
	v_mul_f16_e32 v44, v42, v21
	v_mul_f16_e32 v21, v22, v21
	s_delay_alu instid0(VALU_DEP_2) | instskip(NEXT) | instid1(VALU_DEP_2)
	v_fmac_f16_e32 v44, v22, v3
	v_fma_f16 v3, v42, v3, -v21
	s_delay_alu instid0(VALU_DEP_1)
	v_pack_b32_f16 v3, v3, v44
	ds_load_2addr_b32 v[44:45], v129 offset0:128 offset1:224
	ds_store_2addr_b32 v135, v1, v3 offset0:96 offset1:192
	global_load_b32 v1, v128, s[2:3] offset:4608
	s_wait_dscnt 0x1
	v_lshrrev_b32_e32 v21, 16, v44
	s_wait_loadcnt 0x0
	v_lshrrev_b32_e32 v3, 16, v1
	s_delay_alu instid0(VALU_DEP_1) | instskip(NEXT) | instid1(VALU_DEP_3)
	v_mul_f16_e32 v22, v44, v3
	v_mul_f16_e32 v3, v21, v3
	s_delay_alu instid0(VALU_DEP_2) | instskip(NEXT) | instid1(VALU_DEP_2)
	v_fmac_f16_e32 v22, v21, v1
	v_fma_f16 v21, v44, v1, -v3
	v_lshrrev_b32_e32 v3, 16, v10
	v_lshrrev_b32_e32 v1, 16, v45
	s_delay_alu instid0(VALU_DEP_2) | instskip(NEXT) | instid1(VALU_DEP_2)
	v_mul_f16_e32 v42, v45, v3
	v_mul_f16_e32 v23, v1, v3
	s_delay_alu instid0(VALU_DEP_2)
	v_fmac_f16_e32 v42, v1, v10
	global_load_b32 v1, v128, s[2:3] offset:5760
	v_fma_f16 v23, v45, v10, -v23
	ds_load_2addr_b32 v[44:45], v127 offset0:64 offset1:160
	s_wait_dscnt 0x0
	v_lshrrev_b32_e32 v10, 16, v45
	s_wait_loadcnt 0x0
	v_lshrrev_b32_e32 v3, 16, v1
	s_delay_alu instid0(VALU_DEP_1) | instskip(NEXT) | instid1(VALU_DEP_3)
	v_mul_f16_e32 v47, v45, v3
	v_mul_f16_e32 v3, v10, v3
	s_delay_alu instid0(VALU_DEP_2) | instskip(NEXT) | instid1(VALU_DEP_2)
	v_fmac_f16_e32 v47, v10, v1
	v_fma_f16 v1, v45, v1, -v3
	ds_load_2addr_b32 v[45:46], v95 offset1:96
	v_lshrrev_b32_e32 v3, 16, v18
	v_pack_b32_f16 v1, v1, v47
	s_wait_dscnt 0x0
	v_lshrrev_b32_e32 v10, 16, v45
	s_delay_alu instid0(VALU_DEP_3) | instskip(NEXT) | instid1(VALU_DEP_2)
	v_mul_f16_e32 v48, v45, v3
	v_mul_f16_e32 v3, v10, v3
	s_delay_alu instid0(VALU_DEP_2) | instskip(NEXT) | instid1(VALU_DEP_2)
	v_fmac_f16_e32 v48, v10, v18
	v_fma_f16 v3, v45, v18, -v3
	s_delay_alu instid0(VALU_DEP_1)
	v_pack_b32_f16 v3, v3, v48
	ds_store_2addr_b32 v26, v1, v3 offset0:32 offset1:128
	s_clause 0x2
	global_load_b32 v1, v128, s[2:3] offset:6912
	global_load_b32 v3, v128, s[2:3] offset:7296
	;; [unrolled: 1-line block ×3, first 2 shown]
	ds_load_2addr_b32 v[47:48], v121 offset0:64 offset1:160
	s_wait_dscnt 0x0
	v_lshrrev_b32_e32 v45, 16, v47
	s_wait_loadcnt 0x2
	v_lshrrev_b32_e32 v18, 16, v1
	s_delay_alu instid0(VALU_DEP_1) | instskip(NEXT) | instid1(VALU_DEP_3)
	v_mul_f16_e32 v49, v47, v18
	v_mul_f16_e32 v18, v45, v18
	s_delay_alu instid0(VALU_DEP_2) | instskip(NEXT) | instid1(VALU_DEP_2)
	v_fmac_f16_e32 v49, v45, v1
	v_fma_f16 v18, v47, v1, -v18
	v_lshrrev_b32_e32 v1, 16, v48
	s_wait_loadcnt 0x1
	v_lshrrev_b32_e32 v45, 16, v3
	s_delay_alu instid0(VALU_DEP_1) | instskip(SKIP_1) | instid1(VALU_DEP_2)
	v_mul_f16_e32 v47, v1, v45
	v_mul_f16_e32 v45, v48, v45
	v_fma_f16 v47, v48, v3, -v47
	s_delay_alu instid0(VALU_DEP_2)
	v_fmac_f16_e32 v45, v1, v3
	s_clause 0x1
	global_load_b32 v1, v128, s[2:3] offset:9600
	global_load_b32 v48, v128, s[2:3] offset:10752
	v_lshrrev_b32_e32 v3, 16, v4
	global_load_b32 v50, v128, s[2:3] offset:9984
	s_wait_loadcnt 0x2
	v_lshrrev_b32_e32 v51, 16, v1
	s_delay_alu instid0(VALU_DEP_1) | instskip(SKIP_1) | instid1(VALU_DEP_2)
	v_mul_f16_e32 v52, v3, v51
	v_mul_f16_e32 v51, v4, v51
	v_fma_f16 v52, v4, v1, -v52
	s_delay_alu instid0(VALU_DEP_2) | instskip(SKIP_2) | instid1(VALU_DEP_1)
	v_fmac_f16_e32 v51, v3, v1
	v_lshrrev_b32_e32 v1, 16, v0
	v_lshrrev_b32_e32 v3, 16, v13
	v_mul_f16_e32 v4, v1, v3
	v_mul_f16_e32 v53, v0, v3
	global_load_b32 v3, v128, s[2:3] offset:10368
	v_fma_f16 v54, v0, v13, -v4
	v_fmac_f16_e32 v53, v1, v13
	ds_load_2addr_b32 v[1:2], v110 offset0:64 offset1:160
	s_wait_dscnt 0x0
	v_lshrrev_b32_e32 v13, 16, v2
	s_wait_loadcnt 0x0
	v_lshrrev_b32_e32 v4, 16, v3
	s_delay_alu instid0(VALU_DEP_1) | instskip(NEXT) | instid1(VALU_DEP_3)
	v_mul_f16_e32 v0, v2, v4
	v_mul_f16_e32 v4, v13, v4
	s_delay_alu instid0(VALU_DEP_2) | instskip(NEXT) | instid1(VALU_DEP_2)
	v_fmac_f16_e32 v0, v13, v3
	v_fma_f16 v2, v2, v3, -v4
	ds_load_2addr_b32 v[3:4], v85 offset0:128 offset1:224
	v_lshrrev_b32_e32 v13, 16, v48
	v_pack_b32_f16 v0, v2, v0
	s_wait_dscnt 0x0
	v_lshrrev_b32_e32 v26, 16, v3
	s_delay_alu instid0(VALU_DEP_3) | instskip(NEXT) | instid1(VALU_DEP_2)
	v_mul_f16_e32 v27, v3, v13
	v_mul_f16_e32 v13, v26, v13
	s_delay_alu instid0(VALU_DEP_2) | instskip(NEXT) | instid1(VALU_DEP_2)
	v_fmac_f16_e32 v27, v26, v48
	v_fma_f16 v3, v3, v48, -v13
	s_delay_alu instid0(VALU_DEP_1)
	v_pack_b32_f16 v2, v3, v27
	ds_store_2addr_b32 v85, v0, v2 offset0:32 offset1:128
	v_pack_b32_f16 v0, v24, v15
	v_pack_b32_f16 v2, v54, v53
	ds_store_2addr_b32 v128, v0, v2 offset0:96 offset1:192
	v_lshrrev_b32_e32 v0, 16, v6
	v_lshrrev_b32_e32 v2, 16, v12
	s_delay_alu instid0(VALU_DEP_1) | instskip(SKIP_1) | instid1(VALU_DEP_2)
	v_mul_f16_e32 v3, v0, v2
	v_mul_f16_e32 v2, v6, v2
	v_fma_f16 v3, v6, v12, -v3
	s_delay_alu instid0(VALU_DEP_2) | instskip(SKIP_2) | instid1(VALU_DEP_3)
	v_fmac_f16_e32 v2, v0, v12
	v_lshrrev_b32_e32 v0, 16, v41
	v_lshrrev_b32_e32 v6, 16, v11
	v_pack_b32_f16 v2, v3, v2
	s_delay_alu instid0(VALU_DEP_2) | instskip(SKIP_1) | instid1(VALU_DEP_2)
	v_mul_f16_e32 v12, v0, v6
	v_mul_f16_e32 v6, v41, v6
	v_fma_f16 v12, v41, v11, -v12
	s_delay_alu instid0(VALU_DEP_2)
	v_fmac_f16_e32 v6, v0, v11
	v_pack_b32_f16 v0, v5, v8
	v_lshrrev_b32_e32 v5, 16, v19
	ds_store_2addr_b32 v28, v2, v0 offset0:96 offset1:192
	v_pack_b32_f16 v0, v16, v17
	v_pack_b32_f16 v2, v12, v6
	ds_store_2addr_b32 v25, v0, v2 offset0:32 offset1:128
	v_lshrrev_b32_e32 v0, 16, v43
	v_lshrrev_b32_e32 v2, 16, v20
	s_delay_alu instid0(VALU_DEP_1) | instskip(SKIP_1) | instid1(VALU_DEP_2)
	v_mul_f16_e32 v3, v0, v2
	v_mul_f16_e32 v2, v43, v2
	v_fma_f16 v3, v43, v20, -v3
	s_delay_alu instid0(VALU_DEP_2) | instskip(SKIP_1) | instid1(VALU_DEP_2)
	v_fmac_f16_e32 v2, v0, v20
	v_lshrrev_b32_e32 v0, 16, v44
	v_pack_b32_f16 v2, v3, v2
	s_delay_alu instid0(VALU_DEP_2) | instskip(SKIP_1) | instid1(VALU_DEP_2)
	v_mul_f16_e32 v6, v0, v5
	v_mul_f16_e32 v5, v44, v5
	v_fma_f16 v6, v44, v19, -v6
	s_delay_alu instid0(VALU_DEP_2)
	v_fmac_f16_e32 v5, v0, v19
	v_pack_b32_f16 v0, v21, v22
	ds_store_2addr_b32 v129, v2, v0 offset0:32 offset1:128
	v_pack_b32_f16 v0, v23, v42
	v_pack_b32_f16 v2, v6, v5
	v_lshrrev_b32_e32 v5, 16, v9
	ds_store_2addr_b32 v130, v0, v2 offset0:96 offset1:192
	v_lshrrev_b32_e32 v0, 16, v46
	v_lshrrev_b32_e32 v2, 16, v10
	s_delay_alu instid0(VALU_DEP_1) | instskip(SKIP_1) | instid1(VALU_DEP_2)
	v_mul_f16_e32 v3, v0, v2
	v_mul_f16_e32 v2, v46, v2
	v_fma_f16 v3, v46, v10, -v3
	s_delay_alu instid0(VALU_DEP_2) | instskip(SKIP_1) | instid1(VALU_DEP_2)
	v_fmac_f16_e32 v2, v0, v10
	v_lshrrev_b32_e32 v0, 16, v14
	v_pack_b32_f16 v2, v3, v2
	s_delay_alu instid0(VALU_DEP_2) | instskip(SKIP_1) | instid1(VALU_DEP_2)
	v_mul_f16_e32 v6, v0, v5
	v_mul_f16_e32 v5, v14, v5
	v_fma_f16 v6, v14, v9, -v6
	s_delay_alu instid0(VALU_DEP_2)
	v_fmac_f16_e32 v5, v0, v9
	v_pack_b32_f16 v0, v18, v49
	ds_store_2addr_b32 v95, v2, v0 offset0:96 offset1:192
	v_pack_b32_f16 v0, v47, v45
	v_pack_b32_f16 v2, v6, v5
	ds_store_2addr_b32 v119, v0, v2 offset0:32 offset1:128
	v_lshrrev_b32_e32 v0, 16, v1
	v_lshrrev_b32_e32 v2, 16, v50
	s_delay_alu instid0(VALU_DEP_1) | instskip(SKIP_1) | instid1(VALU_DEP_2)
	v_mul_f16_e32 v3, v0, v2
	v_mul_f16_e32 v2, v1, v2
	v_fma_f16 v1, v1, v50, -v3
	s_delay_alu instid0(VALU_DEP_2) | instskip(SKIP_2) | instid1(VALU_DEP_3)
	v_fmac_f16_e32 v2, v0, v50
	v_lshrrev_b32_e32 v0, 16, v4
	v_lshrrev_b32_e32 v3, 16, v7
	v_pack_b32_f16 v1, v1, v2
	s_delay_alu instid0(VALU_DEP_2) | instskip(SKIP_1) | instid1(VALU_DEP_2)
	v_mul_f16_e32 v5, v0, v3
	v_mul_f16_e32 v3, v4, v3
	v_fma_f16 v4, v4, v7, -v5
	s_delay_alu instid0(VALU_DEP_2)
	v_fmac_f16_e32 v3, v0, v7
	v_pack_b32_f16 v0, v52, v51
	ds_store_2addr_b32 v118, v0, v1 offset0:96 offset1:192
	v_pack_b32_f16 v0, v4, v3
	ds_store_b32 v128, v0 offset:11136
	global_wb scope:SCOPE_SE
	s_wait_dscnt 0x0
	s_barrier_signal -1
	s_barrier_wait -1
	global_inv scope:SCOPE_SE
	ds_load_2addr_b32 v[43:44], v121 offset0:64 offset1:160
	ds_load_2addr_b32 v[41:42], v118 offset1:96
	ds_load_2addr_b32 v[16:17], v191 offset0:64 offset1:160
	ds_load_2addr_b32 v[14:15], v129 offset0:128 offset1:224
	ds_load_2addr_b32 v[28:29], v128 offset1:96
	ds_load_2addr_b32 v[47:48], v119 offset0:128 offset1:224
	;; [unrolled: 3-line block ×3, first 2 shown]
	ds_load_2addr_b32 v[49:50], v137 offset0:64 offset1:160
	s_wait_dscnt 0x9
	v_lshrrev_b32_e32 v18, 16, v43
	s_wait_dscnt 0x8
	v_sub_f16_e32 v0, v43, v41
	s_wait_dscnt 0x6
	v_sub_f16_e32 v1, v14, v16
	v_lshrrev_b32_e32 v10, 16, v14
	v_lshrrev_b32_e32 v5, 16, v16
	;; [unrolled: 1-line block ×3, first 2 shown]
	s_wait_dscnt 0x5
	v_lshrrev_b32_e32 v26, 16, v28
	v_add_f16_e32 v0, v1, v0
	v_add_f16_e32 v1, v16, v41
	v_sub_f16_e32 v32, v10, v18
	v_sub_f16_e32 v23, v5, v7
	;; [unrolled: 1-line block ×4, first 2 shown]
	v_fma_f16 v24, -0.5, v1, v28
	v_sub_f16_e32 v25, v16, v41
	s_wait_dscnt 0x1
	v_sub_f16_e32 v11, v54, v52
	v_lshrrev_b32_e32 v12, 16, v54
	v_lshrrev_b32_e32 v13, 16, v48
	v_fmamk_f16 v4, v32, 0x3b9c, v24
	v_fmac_f16_e32 v24, 0xbb9c, v32
	v_lshrrev_b32_e32 v3, 16, v52
	v_lshrrev_b32_e32 v2, 16, v46
	s_wait_dscnt 0x0
	v_lshrrev_b32_e32 v20, 16, v50
	v_fmac_f16_e32 v4, 0xb8b4, v23
	v_fmac_f16_e32 v24, 0x38b4, v23
	v_sub_f16_e32 v6, v52, v46
	v_sub_f16_e32 v30, v3, v2
	v_add_f16_e32 v21, v3, v2
	v_fmac_f16_e32 v4, 0x34f2, v0
	v_fmac_f16_e32 v24, 0x34f2, v0
	v_add_f16_e32 v0, v10, v18
	v_sub_f16_e64 v180, v13, v2
	v_sub_f16_e32 v2, v2, v13
	s_delay_alu instid0(VALU_DEP_3) | instskip(SKIP_3) | instid1(VALU_DEP_3)
	v_fma_f16 v27, -0.5, v0, v26
	v_add_f16_e32 v0, v5, v7
	v_sub_f16_e32 v7, v7, v18
	v_sub_f16_e32 v18, v16, v14
	v_fmac_f16_e32 v26, -0.5, v0
	v_sub_f16_e32 v0, v10, v5
	v_sub_f16_e32 v5, v5, v10
	;; [unrolled: 1-line block ×3, first 2 shown]
	s_delay_alu instid0(VALU_DEP_4)
	v_fmamk_f16 v9, v31, 0xbb9c, v26
	v_fmac_f16_e32 v26, 0x3b9c, v31
	v_add_f16_e32 v0, v0, v8
	v_sub_f16_e32 v8, v12, v13
	v_add_f16_e32 v7, v5, v7
	v_fmac_f16_e32 v9, 0x38b4, v25
	v_fmac_f16_e32 v26, 0xb8b4, v25
	v_sub_f16_e32 v5, v46, v48
	v_add_f16_e32 v10, v18, v10
	s_delay_alu instid0(VALU_DEP_4) | instskip(NEXT) | instid1(VALU_DEP_4)
	v_fmac_f16_e32 v9, 0x34f2, v0
	v_fmac_f16_e32 v26, 0x34f2, v0
	v_sub_f16_e32 v0, v48, v46
	s_delay_alu instid0(VALU_DEP_1) | instskip(SKIP_1) | instid1(VALU_DEP_1)
	v_add_f16_e32 v0, v11, v0
	v_add_f16_e32 v11, v52, v46
	v_fma_f16 v11, -0.5, v11, v50
	s_delay_alu instid0(VALU_DEP_1) | instskip(SKIP_1) | instid1(VALU_DEP_2)
	v_fmamk_f16 v19, v8, 0x3b9c, v11
	v_fmac_f16_e32 v11, 0xbb9c, v8
	v_fmac_f16_e32 v19, 0xb8b4, v30
	s_delay_alu instid0(VALU_DEP_2) | instskip(NEXT) | instid1(VALU_DEP_2)
	v_fmac_f16_e32 v11, 0x38b4, v30
	v_fmac_f16_e32 v19, 0x34f2, v0
	s_delay_alu instid0(VALU_DEP_2) | instskip(SKIP_1) | instid1(VALU_DEP_1)
	v_fmac_f16_e32 v11, 0x34f2, v0
	v_add_f16_e32 v0, v12, v13
	v_fma_f16 v1, -0.5, v0, v20
	v_fmac_f16_e32 v20, -0.5, v21
	v_sub_f16_e32 v21, v12, v3
	v_sub_f16_e32 v3, v3, v12
	;; [unrolled: 1-line block ×3, first 2 shown]
	s_delay_alu instid0(VALU_DEP_3) | instskip(NEXT) | instid1(VALU_DEP_3)
	v_add_f16_e64 v21, v21, v180
	v_add_f16_e32 v2, v3, v2
	v_add_f16_e32 v3, v54, v48
	v_sub_f16_e64 v180, v54, v48
	v_add_f16_e32 v12, v12, v5
	v_fmamk_f16 v5, v6, 0x3b9c, v1
	v_fmac_f16_e32 v1, 0xbb9c, v6
	v_fma_f16 v3, -0.5, v3, v50
	v_fma_f16 v0, 0xbb9c, v180, v20
	v_fmac_f16_e64 v20, 0x3b9c, v180
	v_fmac_f16_e64 v5, 0x38b4, v180
	;; [unrolled: 1-line block ×3, first 2 shown]
	v_fmamk_f16 v13, v30, 0xbb9c, v3
	v_fmac_f16_e32 v0, 0x38b4, v6
	v_fmac_f16_e32 v20, 0xb8b4, v6
	;; [unrolled: 1-line block ×7, first 2 shown]
	v_mul_f16_e32 v18, 0xb8b4, v5
	v_fmac_f16_e32 v3, 0x38b4, v8
	v_fmac_f16_e32 v13, 0x34f2, v12
	;; [unrolled: 1-line block ×3, first 2 shown]
	v_mul_f16_e32 v22, 0xbb9c, v20
	v_mul_f16_e32 v33, 0xb4f2, v20
	v_fmac_f16_e32 v3, 0x34f2, v12
	v_fmac_f16_e32 v18, 0x3a79, v13
	v_mul_f16_e32 v13, 0x38b4, v13
	v_fmac_f16_e32 v22, 0xb4f2, v11
	v_fmac_f16_e32 v33, 0x3b9c, v11
	v_mul_f16_e32 v11, 0xbb9c, v0
	v_mul_f16_e32 v0, 0x34f2, v0
	v_fmac_f16_e32 v13, 0x3a79, v5
	v_add_f16_e32 v5, v14, v43
	v_add_f16_e32 v20, v26, v33
	v_fmac_f16_e32 v11, 0x34f2, v19
	v_fmac_f16_e32 v0, 0x3b9c, v19
	v_add_f16_e32 v19, v24, v22
	v_fma_f16 v35, -0.5, v5, v28
	s_delay_alu instid0(VALU_DEP_2)
	v_pack_b32_f16 v21, v19, v20
	v_add_f16_e32 v19, v4, v11
	v_add_f16_e32 v20, v9, v0
	v_sub_f16_e32 v4, v4, v11
	v_sub_f16_e32 v0, v9, v0
	v_fmamk_f16 v9, v23, 0xbb9c, v35
	v_fmamk_f16 v11, v25, 0x3b9c, v27
	v_fmac_f16_e32 v35, 0x3b9c, v23
	v_fmac_f16_e32 v27, 0xbb9c, v25
	v_mul_f16_e32 v23, 0xb8b4, v1
	v_mul_f16_e32 v25, 0xba79, v1
	v_fmac_f16_e32 v9, 0xb8b4, v32
	v_fmac_f16_e32 v11, 0x38b4, v31
	v_pk_add_f16 v1, v28, v16
	v_fmac_f16_e32 v23, 0xba79, v3
	v_fmac_f16_e32 v25, 0x38b4, v3
	v_pk_add_f16 v3, v50, v52
	;; [unrolled: 3-line block ×3, first 2 shown]
	v_pack_b32_f16 v5, v4, v0
	v_pk_add_f16 v3, v3, v54
	v_sub_f16_e32 v0, v9, v18
	v_sub_f16_e32 v4, v11, v13
	v_fmac_f16_e32 v35, 0x38b4, v32
	v_fmac_f16_e32 v27, 0xb8b4, v31
	v_pk_add_f16 v1, v1, v43
	v_pk_add_f16 v3, v3, v48
	v_pack_b32_f16 v4, v0, v4
	v_add_f16_e32 v0, v9, v18
	v_add_f16_e32 v2, v11, v13
	v_fmac_f16_e32 v35, 0x34f2, v10
	v_fmac_f16_e32 v27, 0x34f2, v7
	v_pk_add_f16 v6, v1, v41
	v_pk_add_f16 v3, v3, v46
	v_pack_b32_f16 v1, v0, v2
	v_add_f16_e32 v2, v35, v23
	v_pack_b32_f16 v20, v19, v20
	v_lshrrev_b32_e32 v14, 16, v15
	v_pk_add_f16 v0, v6, v3
	v_pk_add_f16 v3, v6, v3 neg_lo:[0,1] neg_hi:[0,1]
	v_add_f16_e32 v6, v27, v25
	v_sub_f16_e32 v16, v17, v15
	s_delay_alu instid0(VALU_DEP_2)
	v_pack_b32_f16 v2, v2, v6
	ds_load_2addr_b32 v[18:19], v107 offset0:128 offset1:224
	ds_load_2addr_b32 v[12:13], v98 offset0:64 offset1:160
	ds_load_2addr_b32 v[8:9], v95 offset1:96
	ds_load_2addr_b32 v[6:7], v87 offset0:64 offset1:160
	ds_load_2addr_b32 v[10:11], v85 offset0:128 offset1:224
	global_wb scope:SCOPE_SE
	s_wait_dscnt 0x0
	s_barrier_signal -1
	s_barrier_wait -1
	global_inv scope:SCOPE_SE
	ds_store_2addr_b64 v142, v[0:1], v[20:21] offset1:1
	ds_store_2addr_b64 v142, v[2:3], v[4:5] offset0:2 offset1:3
	v_sub_f16_e32 v0, v24, v22
	v_sub_f16_e32 v1, v35, v23
	;; [unrolled: 1-line block ×6, first 2 shown]
	v_add_f16_e32 v21, v17, v42
	v_pack_b32_f16 v1, v1, v2
	v_pack_b32_f16 v0, v0, v3
	v_lshrrev_b32_e32 v2, 16, v44
	v_lshrrev_b32_e32 v20, 16, v17
	;; [unrolled: 1-line block ×3, first 2 shown]
	v_fma_f16 v21, -0.5, v21, v29
	ds_store_b64 v142, v[0:1] offset:32
	v_pk_add_f16 v0, v29, v17
	v_add_f16_e32 v1, v15, v44
	v_sub_f16_e32 v24, v20, v23
	v_lshrrev_b32_e32 v26, 16, v29
	v_lshrrev_b32_e32 v30, 16, v6
	v_pk_add_f16 v0, v0, v15
	v_sub_f16_e32 v15, v15, v17
	v_sub_f16_e32 v17, v17, v42
	v_fma_f16 v25, -0.5, v1, v29
	v_sub_f16_e32 v1, v2, v23
	v_pk_add_f16 v0, v0, v44
	v_lshrrev_b32_e32 v29, 16, v8
	v_lshrrev_b32_e32 v33, 16, v12
	v_lshrrev_b32_e32 v35, 16, v10
	v_sub_f16_e32 v3, v42, v44
	v_pk_add_f16 v22, v0, v42
	v_add_f16_e32 v0, v15, v4
	v_sub_f16_e32 v4, v14, v2
	v_sub_f16_e32 v31, v29, v30
	;; [unrolled: 1-line block ×3, first 2 shown]
	v_lshrrev_b32_e32 v42, 16, v18
	v_sub_f16_e32 v44, v30, v35
	v_fmamk_f16 v15, v4, 0x3b9c, v21
	v_fmac_f16_e32 v21, 0xbb9c, v4
	v_sub_f16_e32 v48, v12, v10
	v_add_f16_e32 v16, v16, v3
	v_sub_f16_e32 v3, v35, v30
	v_fmac_f16_e32 v15, 0xb8b4, v24
	v_fmac_f16_e32 v21, 0x38b4, v24
	s_delay_alu instid0(VALU_DEP_2) | instskip(NEXT) | instid1(VALU_DEP_2)
	v_fmac_f16_e32 v15, 0x34f2, v0
	v_fmac_f16_e32 v21, 0x34f2, v0
	v_add_f16_e32 v0, v14, v2
	v_sub_f16_e32 v2, v23, v2
	s_delay_alu instid0(VALU_DEP_2) | instskip(SKIP_2) | instid1(VALU_DEP_2)
	v_fma_f16 v27, -0.5, v0, v26
	v_add_f16_e32 v0, v20, v23
	v_sub_f16_e32 v23, v12, v8
	v_fmac_f16_e32 v26, -0.5, v0
	v_sub_f16_e32 v0, v14, v20
	v_sub_f16_e32 v14, v20, v14
	v_sub_f16_e32 v20, v10, v6
	s_delay_alu instid0(VALU_DEP_4)
	v_fmamk_f16 v28, v5, 0xbb9c, v26
	v_fmac_f16_e32 v26, 0x3b9c, v5
	v_add_f16_e32 v0, v0, v1
	v_sub_f16_e32 v1, v8, v12
	v_add_f16_e32 v14, v14, v2
	v_fmac_f16_e32 v28, 0x38b4, v17
	v_fmac_f16_e32 v26, 0xb8b4, v17
	v_sub_f16_e32 v2, v33, v29
	v_add_f16_e32 v20, v23, v20
	s_delay_alu instid0(VALU_DEP_4) | instskip(NEXT) | instid1(VALU_DEP_4)
	v_fmac_f16_e32 v28, 0x34f2, v0
	v_fmac_f16_e32 v26, 0x34f2, v0
	v_sub_f16_e32 v0, v6, v10
	v_add_f16_e32 v23, v2, v3
	v_add_f16_e32 v2, v8, v6
	s_delay_alu instid0(VALU_DEP_3) | instskip(SKIP_1) | instid1(VALU_DEP_1)
	v_add_f16_e32 v0, v1, v0
	v_add_f16_e32 v1, v12, v10
	v_fma_f16 v1, -0.5, v1, v18
	s_delay_alu instid0(VALU_DEP_1) | instskip(SKIP_1) | instid1(VALU_DEP_2)
	v_fmamk_f16 v32, v31, 0x3b9c, v1
	v_fmac_f16_e32 v1, 0xbb9c, v31
	v_fmac_f16_e32 v32, 0xb8b4, v41
	s_delay_alu instid0(VALU_DEP_2) | instskip(NEXT) | instid1(VALU_DEP_2)
	v_fmac_f16_e32 v1, 0x38b4, v41
	v_fmac_f16_e32 v32, 0x34f2, v0
	s_delay_alu instid0(VALU_DEP_2) | instskip(SKIP_1) | instid1(VALU_DEP_1)
	v_fmac_f16_e32 v1, 0x34f2, v0
	v_add_f16_e32 v0, v29, v30
	v_fma_f16 v43, -0.5, v0, v42
	v_add_f16_e32 v0, v33, v35
	s_delay_alu instid0(VALU_DEP_1) | instskip(SKIP_4) | instid1(VALU_DEP_4)
	v_fmac_f16_e32 v42, -0.5, v0
	v_sub_f16_e32 v0, v29, v33
	v_fma_f16 v29, -0.5, v2, v18
	v_fmamk_f16 v2, v48, 0x3b9c, v43
	v_fmac_f16_e32 v43, 0xbb9c, v48
	v_add_f16_e32 v0, v0, v44
	v_sub_f16_e32 v44, v8, v6
	v_fmamk_f16 v3, v41, 0xbb9c, v29
	v_fmac_f16_e32 v29, 0x3b9c, v41
	s_delay_alu instid0(VALU_DEP_3)
	v_fmamk_f16 v46, v44, 0xbb9c, v42
	v_fmac_f16_e32 v42, 0x3b9c, v44
	v_fmac_f16_e32 v2, 0x38b4, v44
	;; [unrolled: 1-line block ×11, first 2 shown]
	v_mul_f16_e32 v30, 0xb8b4, v2
	v_fmac_f16_e32 v43, 0x34f2, v23
	v_fmac_f16_e32 v29, 0x34f2, v20
	v_mul_f16_e32 v52, 0xbb9c, v46
	v_mul_f16_e32 v50, 0xbb9c, v42
	;; [unrolled: 1-line block ×4, first 2 shown]
	v_fmac_f16_e32 v30, 0x3a79, v3
	v_fmac_f16_e32 v52, 0x34f2, v32
	;; [unrolled: 1-line block ×5, first 2 shown]
	s_delay_alu instid0(VALU_DEP_3) | instskip(NEXT) | instid1(VALU_DEP_3)
	v_add_f16_e32 v0, v21, v50
	v_add_f16_e32 v1, v26, v42
	s_delay_alu instid0(VALU_DEP_3) | instskip(NEXT) | instid1(VALU_DEP_2)
	v_add_f16_e32 v32, v28, v46
	v_pack_b32_f16 v1, v0, v1
	v_add_f16_e32 v0, v15, v52
	s_delay_alu instid0(VALU_DEP_1)
	v_pack_b32_f16 v0, v0, v32
	v_mul_f16_e32 v32, 0x38b4, v3
	v_sub_f16_e32 v3, v28, v46
	v_fmamk_f16 v28, v17, 0x3b9c, v27
	v_fmac_f16_e32 v27, 0xbb9c, v17
	v_mul_f16_e32 v17, 0xba79, v43
	v_fmac_f16_e32 v32, 0x3a79, v2
	v_sub_f16_e32 v2, v15, v52
	v_fmamk_f16 v15, v24, 0xbb9c, v25
	v_fmac_f16_e32 v28, 0x38b4, v5
	v_fmac_f16_e32 v25, 0x3b9c, v24
	;; [unrolled: 1-line block ×3, first 2 shown]
	v_pk_add_f16 v5, v18, v12
	v_fmac_f16_e32 v15, 0xb8b4, v4
	v_fmac_f16_e32 v28, 0x34f2, v14
	;; [unrolled: 1-line block ×3, first 2 shown]
	v_pack_b32_f16 v3, v2, v3
	v_pk_add_f16 v5, v5, v8
	v_fmac_f16_e32 v15, 0x34f2, v16
	v_add_f16_e32 v4, v28, v32
	v_fmac_f16_e32 v25, 0x34f2, v16
	v_mul_f16_e32 v16, 0xb8b4, v43
	v_pk_add_f16 v5, v5, v6
	v_sub_f16_e32 v2, v15, v30
	v_add_f16_e32 v15, v15, v30
	v_fmac_f16_e32 v27, 0x34f2, v14
	v_fmac_f16_e32 v16, 0xba79, v29
	;; [unrolled: 1-line block ×3, first 2 shown]
	v_pk_add_f16 v6, v5, v10
	v_sub_f16_e32 v33, v28, v32
	v_pack_b32_f16 v5, v15, v4
	v_sub_f16_e32 v10, v53, v51
	v_add_f16_e32 v8, v27, v17
	v_pk_add_f16 v4, v22, v6
	v_pk_add_f16 v15, v22, v6 neg_lo:[0,1] neg_hi:[0,1]
	v_add_f16_e32 v6, v25, v16
	v_pack_b32_f16 v2, v2, v33
	v_lshrrev_b32_e32 v12, 16, v51
	v_lshrrev_b32_e32 v24, 16, v7
	v_sub_f16_e32 v28, v13, v9
	v_pack_b32_f16 v14, v6, v8
	ds_store_2addr_b64 v149, v[4:5], v[0:1] offset1:1
	ds_store_2addr_b64 v149, v[14:15], v[2:3] offset0:2 offset1:3
	v_sub_f16_e32 v0, v21, v50
	v_sub_f16_e32 v1, v25, v16
	;; [unrolled: 1-line block ×5, first 2 shown]
	v_lshrrev_b32_e32 v6, 16, v53
	v_add_f16_e32 v14, v51, v45
	v_pack_b32_f16 v1, v1, v2
	v_pack_b32_f16 v0, v0, v3
	v_lshrrev_b32_e32 v2, 16, v47
	v_lshrrev_b32_e32 v17, 16, v45
	v_lshrrev_b32_e32 v21, 16, v49
	v_sub_f16_e32 v5, v53, v47
	ds_store_b64 v149, v[0:1] offset:32
	v_pk_add_f16 v0, v49, v51
	v_sub_f16_e32 v18, v12, v17
	v_add_f16_e32 v1, v53, v47
	v_sub_f16_e32 v15, v51, v45
	v_sub_f16_e32 v25, v11, v7
	v_pk_add_f16 v0, v0, v53
	v_sub_f16_e32 v26, v7, v11
	v_fma_f16 v20, -0.5, v1, v49
	v_sub_f16_e32 v1, v2, v17
	v_lshrrev_b32_e32 v27, 16, v9
	v_pk_add_f16 v0, v0, v47
	v_add_f16_e32 v30, v13, v11
	v_lshrrev_b32_e32 v29, 16, v13
	v_sub_f16_e32 v3, v45, v47
	v_sub_f16_e32 v8, v51, v53
	v_pk_add_f16 v16, v0, v45
	v_add_f16_e32 v0, v10, v4
	v_fma_f16 v10, -0.5, v14, v49
	v_sub_f16_e32 v4, v6, v2
	v_add_f16_e32 v8, v8, v3
	s_delay_alu instid0(VALU_DEP_2) | instskip(SKIP_1) | instid1(VALU_DEP_2)
	v_fmamk_f16 v14, v4, 0x3b9c, v10
	v_fmac_f16_e32 v10, 0xbb9c, v4
	v_fmac_f16_e32 v14, 0xb8b4, v18
	s_delay_alu instid0(VALU_DEP_2) | instskip(NEXT) | instid1(VALU_DEP_2)
	v_fmac_f16_e32 v10, 0x38b4, v18
	v_fmac_f16_e32 v14, 0x34f2, v0
	s_delay_alu instid0(VALU_DEP_2) | instskip(SKIP_2) | instid1(VALU_DEP_2)
	v_fmac_f16_e32 v10, 0x34f2, v0
	v_add_f16_e32 v0, v6, v2
	v_sub_f16_e32 v2, v17, v2
	v_fma_f16 v22, -0.5, v0, v21
	v_add_f16_e32 v0, v12, v17
	v_add_f16_e32 v17, v28, v25
	s_delay_alu instid0(VALU_DEP_2) | instskip(SKIP_3) | instid1(VALU_DEP_4)
	v_fmac_f16_e32 v21, -0.5, v0
	v_sub_f16_e32 v0, v6, v12
	v_sub_f16_e32 v6, v12, v6
	;; [unrolled: 1-line block ×3, first 2 shown]
	v_fmamk_f16 v23, v5, 0xbb9c, v21
	v_fmac_f16_e32 v21, 0x3b9c, v5
	v_add_f16_e32 v0, v0, v1
	v_add_f16_e32 v1, v9, v7
	;; [unrolled: 1-line block ×3, first 2 shown]
	v_fmac_f16_e32 v23, 0x38b4, v15
	v_fmac_f16_e32 v21, 0xb8b4, v15
	s_delay_alu instid0(VALU_DEP_4) | instskip(SKIP_1) | instid1(VALU_DEP_4)
	v_fma_f16 v33, -0.5, v1, v19
	v_add_f16_e32 v1, v27, v24
	v_fmac_f16_e32 v23, 0x34f2, v0
	s_delay_alu instid0(VALU_DEP_4) | instskip(SKIP_1) | instid1(VALU_DEP_1)
	v_fmac_f16_e32 v21, 0x34f2, v0
	v_pk_add_f16 v0, v19, v13
	v_pk_add_f16 v0, v0, v9
	s_delay_alu instid0(VALU_DEP_1) | instskip(SKIP_3) | instid1(VALU_DEP_4)
	v_pk_add_f16 v0, v0, v7
	v_sub_f16_e32 v7, v9, v7
	v_sub_f16_e32 v9, v9, v13
	;; [unrolled: 1-line block ×3, first 2 shown]
	v_pk_add_f16 v31, v0, v11
	v_lshrrev_b32_e32 v11, 16, v11
	s_delay_alu instid0(VALU_DEP_4) | instskip(SKIP_2) | instid1(VALU_DEP_4)
	v_add_f16_e32 v0, v9, v26
	v_fma_f16 v9, -0.5, v30, v19
	v_sub_f16_e32 v26, v27, v24
	v_sub_f16_e32 v32, v29, v11
	v_sub_f16_e32 v35, v24, v11
	s_delay_alu instid0(VALU_DEP_3) | instskip(SKIP_1) | instid1(VALU_DEP_4)
	v_fmamk_f16 v30, v26, 0x3b9c, v9
	v_fmac_f16_e32 v9, 0xbb9c, v26
	v_fmamk_f16 v3, v32, 0xbb9c, v33
	v_fmac_f16_e32 v33, 0x3b9c, v32
	s_delay_alu instid0(VALU_DEP_4) | instskip(NEXT) | instid1(VALU_DEP_4)
	v_fmac_f16_e32 v30, 0xb8b4, v32
	v_fmac_f16_e32 v9, 0x38b4, v32
	s_delay_alu instid0(VALU_DEP_4) | instskip(NEXT) | instid1(VALU_DEP_4)
	v_fmac_f16_e32 v3, 0xb8b4, v26
	;; [unrolled: 3-line block ×3, first 2 shown]
	v_fmac_f16_e32 v9, 0x34f2, v0
	v_lshrrev_b32_e32 v0, 16, v19
	v_fmac_f16_e32 v3, 0x34f2, v17
	v_fmac_f16_e32 v33, 0x34f2, v17
	s_delay_alu instid0(VALU_DEP_3) | instskip(SKIP_3) | instid1(VALU_DEP_4)
	v_fma_f16 v19, -0.5, v1, v0
	v_add_f16_e32 v1, v29, v11
	v_sub_f16_e32 v11, v11, v24
	v_mul_f16_e32 v24, 0x38b4, v3
	v_fmamk_f16 v2, v13, 0x3b9c, v19
	s_delay_alu instid0(VALU_DEP_4) | instskip(SKIP_4) | instid1(VALU_DEP_4)
	v_fmac_f16_e32 v0, -0.5, v1
	v_sub_f16_e32 v1, v27, v29
	v_add_f16_e32 v11, v12, v11
	v_fmac_f16_e32 v19, 0xbb9c, v13
	v_fmac_f16_e32 v2, 0x38b4, v7
	v_add_f16_e32 v1, v1, v35
	v_fmamk_f16 v35, v7, 0xbb9c, v0
	v_fmac_f16_e32 v0, 0x3b9c, v7
	s_delay_alu instid0(VALU_DEP_4) | instskip(SKIP_1) | instid1(VALU_DEP_4)
	v_fmac_f16_e32 v2, 0x34f2, v11
	v_fmac_f16_e32 v19, 0xb8b4, v7
	;; [unrolled: 1-line block ×3, first 2 shown]
	s_delay_alu instid0(VALU_DEP_4) | instskip(NEXT) | instid1(VALU_DEP_4)
	v_fmac_f16_e32 v0, 0xb8b4, v13
	v_mul_f16_e32 v12, 0xb8b4, v2
	v_fmac_f16_e32 v24, 0x3a79, v2
	v_fmac_f16_e32 v19, 0x34f2, v11
	;; [unrolled: 1-line block ×5, first 2 shown]
	s_delay_alu instid0(VALU_DEP_2) | instskip(SKIP_1) | instid1(VALU_DEP_2)
	v_mul_f16_e32 v41, 0xbb9c, v0
	v_mul_f16_e32 v42, 0xb4f2, v0
	v_fmac_f16_e32 v41, 0xb4f2, v9
	s_delay_alu instid0(VALU_DEP_2) | instskip(SKIP_2) | instid1(VALU_DEP_4)
	v_fmac_f16_e32 v42, 0x3b9c, v9
	v_mul_f16_e32 v9, 0xbb9c, v35
	v_mul_f16_e32 v35, 0x34f2, v35
	v_add_f16_e32 v0, v10, v41
	s_delay_alu instid0(VALU_DEP_4) | instskip(NEXT) | instid1(VALU_DEP_4)
	v_add_f16_e32 v1, v21, v42
	v_fmac_f16_e32 v9, 0x34f2, v30
	s_delay_alu instid0(VALU_DEP_4) | instskip(NEXT) | instid1(VALU_DEP_3)
	v_fmac_f16_e32 v35, 0x3b9c, v30
	v_pack_b32_f16 v1, v0, v1
	s_delay_alu instid0(VALU_DEP_3)
	v_add_f16_e32 v0, v14, v9
	v_sub_f16_e32 v2, v14, v9
	v_fmamk_f16 v9, v18, 0xbb9c, v20
	v_fmac_f16_e32 v20, 0x3b9c, v18
	v_fmamk_f16 v14, v15, 0x3b9c, v22
	v_sub_f16_e32 v3, v23, v35
	v_fmac_f16_e32 v22, 0xbb9c, v15
	v_fmac_f16_e32 v9, 0xb8b4, v4
	;; [unrolled: 1-line block ×4, first 2 shown]
	v_pack_b32_f16 v3, v2, v3
	v_fmac_f16_e32 v22, 0xb8b4, v5
	v_fmac_f16_e32 v9, 0x34f2, v8
	;; [unrolled: 1-line block ×3, first 2 shown]
	v_mul_f16_e32 v8, 0xb8b4, v19
	v_fmac_f16_e32 v14, 0x34f2, v6
	v_fmac_f16_e32 v22, 0x34f2, v6
	v_sub_f16_e32 v2, v9, v12
	v_add_f16_e32 v7, v9, v12
	v_mul_f16_e32 v9, 0xba79, v19
	v_fmac_f16_e32 v8, 0xba79, v33
	v_add_f16_e32 v30, v23, v35
	v_add_f16_e32 v4, v14, v24
	v_sub_f16_e32 v23, v14, v24
	v_fmac_f16_e32 v9, 0x38b4, v33
	v_add_f16_e32 v6, v20, v8
	v_pack_b32_f16 v0, v0, v30
	v_pack_b32_f16 v5, v7, v4
	v_pk_add_f16 v4, v16, v31
	v_add_f16_e32 v11, v22, v9
	v_pack_b32_f16 v2, v2, v23
	v_pk_add_f16 v7, v16, v31 neg_lo:[0,1] neg_hi:[0,1]
	v_lshrrev_b32_e32 v12, 16, v238
	s_delay_alu instid0(VALU_DEP_4)
	v_pack_b32_f16 v6, v6, v11
	ds_store_2addr_b64 v147, v[4:5], v[0:1] offset1:1
	ds_store_2addr_b64 v147, v[6:7], v[2:3] offset0:2 offset1:3
	v_sub_f16_e32 v0, v10, v41
	v_sub_f16_e32 v1, v20, v8
	;; [unrolled: 1-line block ×4, first 2 shown]
	v_lshrrev_b32_e32 v4, 16, v210
	v_lshrrev_b32_e32 v6, 16, v211
	;; [unrolled: 1-line block ×3, first 2 shown]
	v_pack_b32_f16 v1, v1, v2
	v_pack_b32_f16 v0, v0, v3
	v_lshrrev_b32_e32 v2, 16, v209
	v_lshrrev_b32_e32 v9, 16, v131
	ds_store_b64 v147, v[0:1] offset:32
	global_wb scope:SCOPE_SE
	s_wait_dscnt 0x0
	s_barrier_signal -1
	s_barrier_wait -1
	global_inv scope:SCOPE_SE
	ds_load_2addr_b32 v[41:42], v107 offset0:128 offset1:224
	s_wait_dscnt 0x0
	v_lshrrev_b32_e32 v0, 16, v42
	v_mul_f16_e32 v1, v2, v42
	s_delay_alu instid0(VALU_DEP_2) | instskip(NEXT) | instid1(VALU_DEP_2)
	v_mul_f16_e32 v49, v2, v0
	v_fma_f16 v51, v209, v0, -v1
	ds_load_2addr_b32 v[0:1], v98 offset0:64 offset1:160
	v_fmac_f16_e64 v49, v209, v42
	s_wait_dscnt 0x0
	v_lshrrev_b32_e32 v2, 16, v0
	v_mul_f16_e32 v3, v4, v0
	s_delay_alu instid0(VALU_DEP_2) | instskip(NEXT) | instid1(VALU_DEP_2)
	v_mul_f16_e32 v14, v4, v2
	v_fma_f16 v15, v210, v2, -v3
	ds_load_2addr_b32 v[2:3], v127 offset0:64 offset1:160
	v_fmac_f16_e64 v14, v210, v0
	v_lshrrev_b32_e32 v0, 16, v132
	s_wait_dscnt 0x0
	v_lshrrev_b32_e32 v4, 16, v3
	v_mul_f16_e32 v5, v6, v3
	s_delay_alu instid0(VALU_DEP_2) | instskip(NEXT) | instid1(VALU_DEP_2)
	v_mul_f16_e32 v16, v6, v4
	v_fma_f16 v17, v211, v4, -v5
	ds_load_2addr_b32 v[4:5], v119 offset0:128 offset1:224
	v_fmac_f16_e64 v16, v211, v3
	v_lshrrev_b32_e32 v3, 16, v1
	s_delay_alu instid0(VALU_DEP_1) | instskip(NEXT) | instid1(VALU_DEP_1)
	v_mul_f16_e32 v45, v0, v3
	v_fmac_f16_e64 v45, v132, v1
	s_wait_dscnt 0x0
	v_lshrrev_b32_e32 v6, 16, v4
	v_mul_f16_e32 v7, v8, v4
	s_delay_alu instid0(VALU_DEP_2) | instskip(NEXT) | instid1(VALU_DEP_2)
	v_mul_f16_e32 v18, v8, v6
	v_fma_f16 v19, v212, v6, -v7
	v_lshrrev_b32_e32 v6, 16, v5
	s_delay_alu instid0(VALU_DEP_3)
	v_fmac_f16_e64 v18, v212, v4
	v_mul_f16_e32 v4, v0, v1
	v_lshrrev_b32_e32 v0, 16, v134
	v_add_f16_e32 v25, v15, v19
	v_sub_f16_e32 v26, v15, v19
	v_sub_f16_e32 v27, v14, v18
	v_fma_f16 v54, v132, v3, -v4
	v_mul_f16_e32 v52, v0, v6
	ds_load_2addr_b32 v[3:4], v95 offset1:96
	v_fmac_f16_e64 v52, v134, v5
	v_mul_f16_e32 v5, v0, v5
	ds_load_2addr_b32 v[0:1], v191 offset0:64 offset1:160
	v_fma_f16 v130, v134, v6, -v5
	s_wait_dscnt 0x0
	v_lshrrev_b32_e32 v7, 16, v0
	v_mul_f16_e32 v8, v9, v0
	s_delay_alu instid0(VALU_DEP_2) | instskip(NEXT) | instid1(VALU_DEP_2)
	v_mul_f16_e32 v46, v9, v7
	v_fma_f16 v48, v131, v7, -v8
	v_lshrrev_b32_e32 v7, 16, v3
	v_lshrrev_b32_e32 v9, 16, v133
	s_delay_alu instid0(VALU_DEP_4) | instskip(SKIP_1) | instid1(VALU_DEP_3)
	v_fmac_f16_e64 v46, v131, v0
	v_lshrrev_b32_e32 v0, 16, v1
	v_mul_f16_e32 v20, v9, v7
	v_mul_f16_e32 v8, v9, v3
	s_delay_alu instid0(VALU_DEP_3) | instskip(NEXT) | instid1(VALU_DEP_3)
	v_mul_f16_e32 v42, v57, v0
	v_fmac_f16_e64 v20, v133, v3
	v_lshrrev_b32_e32 v3, 16, v4
	s_delay_alu instid0(VALU_DEP_4) | instskip(NEXT) | instid1(VALU_DEP_4)
	v_fma_f16 v21, v133, v7, -v8
	v_fmac_f16_e32 v42, v36, v1
	v_mul_f16_e32 v1, v57, v1
	s_delay_alu instid0(VALU_DEP_4) | instskip(NEXT) | instid1(VALU_DEP_2)
	v_mul_f16_e32 v44, v64, v3
	v_fma_f16 v43, v36, v0, -v1
	ds_load_2addr_b32 v[0:1], v129 offset0:128 offset1:224
	v_fmac_f16_e32 v44, v38, v4
	v_mul_f16_e32 v4, v64, v4
	s_delay_alu instid0(VALU_DEP_1) | instskip(SKIP_4) | instid1(VALU_DEP_2)
	v_fma_f16 v47, v38, v3, -v4
	ds_load_2addr_b32 v[3:4], v87 offset0:64 offset1:160
	s_wait_dscnt 0x1
	v_lshrrev_b32_e32 v5, 16, v0
	v_mul_f16_e32 v6, v56, v0
	v_mul_f16_e32 v50, v56, v5
	s_delay_alu instid0(VALU_DEP_2) | instskip(SKIP_4) | instid1(VALU_DEP_3)
	v_fma_f16 v53, v37, v5, -v6
	s_wait_dscnt 0x0
	v_lshrrev_b32_e32 v5, 16, v3
	v_mul_f16_e32 v6, v40, v3
	v_fmac_f16_e32 v50, v37, v0
	v_mul_f16_e32 v40, v40, v5
	s_delay_alu instid0(VALU_DEP_3) | instskip(SKIP_2) | instid1(VALU_DEP_4)
	v_fma_f16 v56, v39, v5, -v6
	v_mul_f16_e64 v5, v233, v1
	v_lshrrev_b32_e32 v6, 16, v4
	v_fmac_f16_e32 v40, v39, v3
	v_lshrrev_b32_e32 v3, 16, v1
	s_delay_alu instid0(VALU_DEP_3) | instskip(NEXT) | instid1(VALU_DEP_2)
	v_mul_f16_e32 v36, v65, v6
	v_mul_f16_e64 v7, v233, v3
	v_fma_f16 v33, v78, v3, -v5
	s_delay_alu instid0(VALU_DEP_3) | instskip(SKIP_1) | instid1(VALU_DEP_4)
	v_fmac_f16_e32 v36, v80, v4
	v_mul_f16_e32 v4, v65, v4
	v_fmac_f16_e32 v7, v78, v1
	ds_load_2addr_b32 v[0:1], v135 offset1:96
	v_fma_f16 v35, v80, v6, -v4
	v_lshrrev_b32_e32 v6, 16, v237
	s_wait_dscnt 0x0
	v_lshrrev_b32_e32 v9, 16, v0
	v_mul_f16_e32 v10, v86, v0
	s_delay_alu instid0(VALU_DEP_2) | instskip(NEXT) | instid1(VALU_DEP_2)
	v_mul_f16_e32 v8, v86, v9
	v_fma_f16 v11, v77, v9, -v10
	ds_load_2addr_b32 v[9:10], v121 offset0:64 offset1:160
	v_fmac_f16_e32 v8, v77, v0
	v_lshrrev_b32_e32 v0, 16, v1
	s_wait_dscnt 0x0
	v_lshrrev_b32_e32 v3, 16, v9
	v_mul_f16_e32 v5, v66, v9
	s_delay_alu instid0(VALU_DEP_2) | instskip(NEXT) | instid1(VALU_DEP_2)
	v_mul_f16_e32 v38, v66, v3
	v_fma_f16 v37, v79, v3, -v5
	v_lshrrev_b32_e32 v3, 16, v236
	s_delay_alu instid0(VALU_DEP_3) | instskip(SKIP_1) | instid1(VALU_DEP_3)
	v_fmac_f16_e32 v38, v79, v9
	v_lshrrev_b32_e32 v9, 16, v10
	v_mul_f16_e32 v4, v3, v0
	s_delay_alu instid0(VALU_DEP_1) | instskip(SKIP_2) | instid1(VALU_DEP_2)
	v_fmac_f16_e64 v4, v236, v1
	v_mul_f16_e32 v1, v3, v1
	v_lshrrev_b32_e32 v3, 16, v2
	v_fma_f16 v0, v236, v0, -v1
	s_delay_alu instid0(VALU_DEP_2) | instskip(NEXT) | instid1(VALU_DEP_1)
	v_mul_f16_e32 v5, v6, v3
	v_fmac_f16_e64 v5, v237, v2
	v_mul_f16_e32 v2, v6, v2
	v_mul_f16_e32 v6, v12, v9
	;; [unrolled: 1-line block ×3, first 2 shown]
	s_delay_alu instid0(VALU_DEP_3) | instskip(NEXT) | instid1(VALU_DEP_3)
	v_fma_f16 v1, v237, v3, -v2
	v_fmac_f16_e64 v6, v238, v10
	s_delay_alu instid0(VALU_DEP_3) | instskip(SKIP_4) | instid1(VALU_DEP_2)
	v_fma_f16 v10, v238, v9, -v12
	ds_load_2addr_b32 v[12:13], v118 offset1:96
	v_lshrrev_b32_e32 v2, 16, v239
	s_wait_dscnt 0x0
	v_lshrrev_b32_e32 v3, 16, v12
	v_mul_f16_e32 v9, v2, v12
	s_delay_alu instid0(VALU_DEP_2) | instskip(NEXT) | instid1(VALU_DEP_2)
	v_mul_f16_e32 v2, v2, v3
	v_fma_f16 v9, v239, v3, -v9
	v_lshrrev_b32_e32 v3, 16, v13
	s_delay_alu instid0(VALU_DEP_3) | instskip(SKIP_1) | instid1(VALU_DEP_1)
	v_fmac_f16_e64 v2, v239, v12
	v_lshrrev_b32_e32 v12, 16, v152
	v_mul_f16_e32 v22, v12, v3
	v_mul_f16_e32 v12, v12, v13
	s_delay_alu instid0(VALU_DEP_2) | instskip(NEXT) | instid1(VALU_DEP_2)
	v_fmac_f16_e64 v22, v152, v13
	v_fma_f16 v3, v152, v3, -v12
	ds_load_2addr_b32 v[12:13], v128 offset1:96
	v_sub_f16_e32 v28, v16, v22
	v_sub_f16_e32 v29, v17, v3
	s_wait_dscnt 0x0
	v_lshrrev_b32_e32 v23, 16, v12
	s_delay_alu instid0(VALU_DEP_1) | instskip(SKIP_2) | instid1(VALU_DEP_3)
	v_add_f16_e32 v24, v23, v15
	v_add_f16_e32 v15, v12, v14
	v_fmac_f16_e32 v23, -0.5, v25
	v_add_f16_e32 v24, v24, v19
	s_delay_alu instid0(VALU_DEP_3)
	v_add_f16_e32 v25, v15, v18
	v_add_f16_e32 v15, v14, v18
	;; [unrolled: 1-line block ×5, first 2 shown]
	v_fmamk_f16 v57, v27, 0x3aee, v23
	v_fma_f16 v12, -0.5, v15, v12
	v_fmac_f16_e32 v51, -0.5, v14
	v_add_f16_e32 v14, v49, v16
	v_fmac_f16_e32 v49, -0.5, v19
	v_add_f16_e32 v3, v18, v3
	v_fmamk_f16 v39, v26, 0xbaee, v12
	v_fmac_f16_e32 v12, 0x3aee, v26
	v_add_f16_e32 v22, v14, v22
	v_fmamk_f16 v14, v28, 0x3aee, v51
	v_fmac_f16_e32 v51, 0xbaee, v28
	v_fmac_f16_e32 v23, 0xbaee, v27
	v_add_f16_e32 v16, v24, v3
	v_sub_f16_e32 v3, v24, v3
	v_mul_f16_e32 v30, 0xbaee, v14
	v_mul_f16_e32 v31, 0.5, v14
	v_fmamk_f16 v14, v29, 0xbaee, v49
	v_fmac_f16_e32 v49, 0x3aee, v29
	v_mul_f16_e32 v26, 0xbaee, v51
	v_mul_f16_e32 v27, -0.5, v51
	v_add_f16_e64 v28, v54, v130
	v_fmac_f16_e32 v30, 0.5, v14
	v_fmac_f16_e32 v31, 0x3aee, v14
	v_add_f16_e32 v14, v25, v22
	v_fmac_f16_e32 v26, -0.5, v49
	v_fmac_f16_e32 v27, 0x3aee, v49
	v_sub_f16_e32 v22, v25, v22
	v_add_f16_e32 v15, v57, v31
	v_pack_b32_f16 v32, v14, v16
	v_add_f16_e32 v14, v39, v30
	v_add_f16_e32 v24, v12, v26
	;; [unrolled: 1-line block ×3, first 2 shown]
	v_pack_b32_f16 v3, v22, v3
	v_sub_f16_e32 v12, v12, v26
	v_pack_b32_f16 v64, v14, v15
	ds_load_2addr_b32 v[14:15], v110 offset0:64 offset1:160
	ds_load_2addr_b32 v[16:17], v137 offset0:64 offset1:160
	;; [unrolled: 1-line block ×3, first 2 shown]
	v_pack_b32_f16 v24, v24, v25
	global_wb scope:SCOPE_SE
	s_wait_dscnt 0x0
	s_barrier_signal -1
	s_barrier_wait -1
	global_inv scope:SCOPE_SE
	ds_store_2addr_b32 v148, v24, v3 offset0:20 offset1:30
	v_sub_f16_e32 v3, v39, v30
	v_sub_f16_e32 v22, v57, v31
	;; [unrolled: 1-line block ×3, first 2 shown]
	v_add_f16_e32 v25, v46, v20
	v_add_f16_e32 v26, v48, v21
	ds_store_2addr_b32 v148, v32, v64 offset1:10
	v_pack_b32_f16 v3, v3, v22
	v_pack_b32_f16 v12, v12, v23
	v_lshrrev_b32_e32 v22, 16, v144
	v_add_f16_e32 v23, v13, v45
	ds_store_2addr_b32 v148, v3, v12 offset0:40 offset1:50
	v_lshrrev_b32_e32 v3, 16, v14
	v_mul_f16_e32 v12, v22, v14
	v_add_f16_e32 v23, v23, v52
	s_delay_alu instid0(VALU_DEP_3) | instskip(NEXT) | instid1(VALU_DEP_3)
	v_mul_f16_e32 v22, v22, v3
	v_fma_f16 v3, v144, v3, -v12
	v_add_f16_e32 v12, v45, v52
	s_delay_alu instid0(VALU_DEP_3) | instskip(SKIP_1) | instid1(VALU_DEP_3)
	v_fmac_f16_e64 v22, v144, v14
	v_lshrrev_b32_e32 v14, 16, v13
	v_fmac_f16_e32 v13, -0.5, v12
	v_sub_f16_e64 v12, v54, v130
	s_delay_alu instid0(VALU_DEP_1) | instskip(SKIP_2) | instid1(VALU_DEP_1)
	v_fmamk_f16 v24, v12, 0xbaee, v13
	v_fmac_f16_e32 v13, 0x3aee, v12
	v_add_f16_e32 v12, v20, v22
	v_fmac_f16_e32 v46, -0.5, v12
	v_add_f16_e32 v12, v21, v3
	s_delay_alu instid0(VALU_DEP_1) | instskip(SKIP_2) | instid1(VALU_DEP_2)
	v_fmac_f16_e32 v48, -0.5, v12
	v_sub_f16_e32 v12, v20, v22
	v_add_f16_e32 v22, v25, v22
	v_fmamk_f16 v20, v12, 0x3aee, v48
	v_fmac_f16_e32 v48, 0xbaee, v12
	v_sub_f16_e32 v12, v21, v3
	v_add_f16_e32 v3, v26, v3
	s_delay_alu instid0(VALU_DEP_4) | instskip(SKIP_1) | instid1(VALU_DEP_4)
	v_mul_f16_e32 v25, 0xbaee, v20
	v_mul_f16_e32 v20, 0.5, v20
	v_fmamk_f16 v21, v12, 0xbaee, v46
	v_fmac_f16_e32 v46, 0x3aee, v12
	v_mul_f16_e32 v12, 0xbaee, v48
	s_delay_alu instid0(VALU_DEP_3) | instskip(SKIP_1) | instid1(VALU_DEP_3)
	v_fmac_f16_e32 v25, 0.5, v21
	v_fmac_f16_e32 v20, 0x3aee, v21
	v_fmac_f16_e32 v12, -0.5, v46
	v_add_f16_e32 v21, v23, v22
	v_sub_f16_e32 v22, v23, v22
	v_add_f16_e32 v29, v24, v25
	s_delay_alu instid0(VALU_DEP_4) | instskip(SKIP_4) | instid1(VALU_DEP_3)
	v_add_f16_e32 v27, v13, v12
	v_sub_f16_e32 v12, v13, v12
	v_add_f16_e32 v13, v14, v54
	v_fmac_f16_e32 v14, -0.5, v28
	v_sub_f16_e32 v28, v45, v52
	v_add_f16_e64 v13, v13, v130
	s_delay_alu instid0(VALU_DEP_1) | instskip(SKIP_1) | instid1(VALU_DEP_2)
	v_add_f16_e32 v26, v13, v3
	v_sub_f16_e32 v3, v13, v3
	v_pack_b32_f16 v21, v21, v26
	v_fmamk_f16 v26, v28, 0x3aee, v14
	v_fmac_f16_e32 v14, 0xbaee, v28
	s_delay_alu instid0(VALU_DEP_4) | instskip(SKIP_1) | instid1(VALU_DEP_4)
	v_pack_b32_f16 v3, v22, v3
	v_sub_f16_e32 v22, v50, v40
	v_add_f16_e32 v30, v26, v20
	s_delay_alu instid0(VALU_DEP_1) | instskip(SKIP_2) | instid1(VALU_DEP_1)
	v_pack_b32_f16 v29, v29, v30
	ds_store_2addr_b32 v207, v21, v29 offset1:10
	v_mul_f16_e32 v21, -0.5, v48
	v_fmac_f16_e32 v21, 0x3aee, v46
	s_delay_alu instid0(VALU_DEP_1) | instskip(SKIP_2) | instid1(VALU_DEP_3)
	v_add_f16_e32 v13, v14, v21
	v_sub_f16_e32 v14, v14, v21
	v_add_f16_e32 v21, v50, v40
	v_pack_b32_f16 v13, v27, v13
	s_delay_alu instid0(VALU_DEP_3)
	v_pack_b32_f16 v12, v12, v14
	ds_store_2addr_b32 v207, v13, v3 offset0:20 offset1:30
	v_sub_f16_e32 v3, v24, v25
	v_sub_f16_e32 v13, v26, v20
	v_add_f16_e32 v24, v43, v47
	v_sub_f16_e32 v20, v53, v56
	s_delay_alu instid0(VALU_DEP_3) | instskip(SKIP_3) | instid1(VALU_DEP_1)
	v_pack_b32_f16 v3, v3, v13
	v_mul_f16_e64 v13, v223, v15
	ds_store_2addr_b32 v207, v3, v12 offset0:40 offset1:50
	v_lshrrev_b32_e32 v3, 16, v15
	v_mul_f16_e64 v12, v223, v3
	v_fma_f16 v3, v203, v3, -v13
	v_lshrrev_b32_e32 v13, 16, v16
	s_delay_alu instid0(VALU_DEP_3) | instskip(NEXT) | instid1(VALU_DEP_3)
	v_fmac_f16_e64 v12, v203, v15
	v_add_f16_e32 v23, v47, v3
	v_add_f16_e32 v15, v53, v56
	s_delay_alu instid0(VALU_DEP_4) | instskip(NEXT) | instid1(VALU_DEP_4)
	v_add_f16_e32 v14, v13, v53
	v_add_f16_e32 v25, v44, v12
	s_delay_alu instid0(VALU_DEP_4)
	v_fmac_f16_e32 v43, -0.5, v23
	v_add_f16_e32 v23, v42, v44
	v_sub_f16_e32 v26, v44, v12
	v_fmac_f16_e32 v13, -0.5, v15
	v_add_f16_e32 v15, v16, v50
	v_fmac_f16_e32 v42, -0.5, v25
	v_add_f16_e32 v12, v23, v12
	v_sub_f16_e32 v23, v47, v3
	v_add_f16_e32 v3, v24, v3
	v_fmamk_f16 v24, v26, 0x3aee, v43
	v_add_f16_e32 v14, v14, v56
	v_add_f16_e32 v15, v15, v40
	v_fmamk_f16 v27, v23, 0xbaee, v42
	v_fma_f16 v16, -0.5, v21, v16
	v_mul_f16_e32 v25, 0xbaee, v24
	v_mul_f16_e32 v24, 0.5, v24
	v_add_f16_e32 v28, v14, v3
	v_fmac_f16_e32 v43, 0xbaee, v26
	v_fmamk_f16 v21, v20, 0xbaee, v16
	v_fmac_f16_e32 v25, 0.5, v27
	v_fmac_f16_e32 v24, 0x3aee, v27
	v_add_f16_e32 v27, v15, v12
	v_fmac_f16_e32 v16, 0x3aee, v20
	v_fmac_f16_e32 v42, 0x3aee, v23
	v_mul_f16_e32 v20, 0xbaee, v43
	v_sub_f16_e32 v12, v15, v12
	v_pack_b32_f16 v27, v27, v28
	v_fmamk_f16 v28, v22, 0x3aee, v13
	v_fmac_f16_e32 v13, 0xbaee, v22
	v_mul_f16_e32 v22, -0.5, v43
	v_fmac_f16_e32 v20, -0.5, v42
	v_sub_f16_e32 v3, v14, v3
	v_add_f16_e32 v29, v21, v25
	v_add_f16_e32 v30, v28, v24
	v_fmac_f16_e32 v22, 0x3aee, v42
	v_add_f16_e32 v14, v16, v20
	v_pack_b32_f16 v3, v12, v3
	v_sub_f16_e32 v12, v16, v20
	v_add_f16_e32 v20, v11, v37
	v_add_f16_e32 v15, v13, v22
	v_sub_f16_e32 v13, v13, v22
	v_pack_b32_f16 v29, v29, v30
	s_delay_alu instid0(VALU_DEP_3) | instskip(NEXT) | instid1(VALU_DEP_3)
	v_pack_b32_f16 v14, v14, v15
	v_pack_b32_f16 v12, v12, v13
	v_add_f16_e32 v15, v17, v7
	ds_store_2addr_b32 v235, v27, v29 offset1:10
	ds_store_2addr_b32 v235, v14, v3 offset0:20 offset1:30
	v_sub_f16_e32 v3, v21, v25
	v_sub_f16_e32 v14, v28, v24
	v_add_f16_e32 v24, v33, v35
	v_add_f16_e32 v15, v15, v36
	s_delay_alu instid0(VALU_DEP_3) | instskip(SKIP_4) | instid1(VALU_DEP_2)
	v_pack_b32_f16 v3, v3, v14
	v_lshrrev_b32_e32 v14, 16, v17
	ds_store_2addr_b32 v235, v3, v12 offset0:40 offset1:50
	v_lshrrev_b32_e32 v3, 16, v18
	v_mul_f16_e32 v12, v34, v18
	v_mul_f16_e32 v13, v34, v3
	s_delay_alu instid0(VALU_DEP_2) | instskip(SKIP_2) | instid1(VALU_DEP_4)
	v_fma_f16 v3, v194, v3, -v12
	v_add_f16_e32 v12, v7, v36
	v_sub_f16_e32 v7, v7, v36
	v_fmac_f16_e64 v13, v194, v18
	v_add_f16_e32 v18, v8, v38
	s_delay_alu instid0(VALU_DEP_4) | instskip(SKIP_1) | instid1(VALU_DEP_1)
	v_fmac_f16_e32 v17, -0.5, v12
	v_sub_f16_e32 v12, v33, v35
	v_fmamk_f16 v16, v12, 0xbaee, v17
	v_fmac_f16_e32 v17, 0x3aee, v12
	v_add_f16_e32 v12, v38, v13
	s_delay_alu instid0(VALU_DEP_1) | instskip(SKIP_1) | instid1(VALU_DEP_1)
	v_fmac_f16_e32 v8, -0.5, v12
	v_add_f16_e32 v12, v37, v3
	v_fmac_f16_e32 v11, -0.5, v12
	v_sub_f16_e32 v12, v38, v13
	v_add_f16_e32 v13, v18, v13
	s_delay_alu instid0(VALU_DEP_2) | instskip(SKIP_3) | instid1(VALU_DEP_4)
	v_fmamk_f16 v21, v12, 0x3aee, v11
	v_fmac_f16_e32 v11, 0xbaee, v12
	v_sub_f16_e32 v12, v37, v3
	v_add_f16_e32 v3, v20, v3
	v_mul_f16_e32 v18, 0xbaee, v21
	v_mul_f16_e32 v20, 0.5, v21
	s_delay_alu instid0(VALU_DEP_4) | instskip(SKIP_3) | instid1(VALU_DEP_4)
	v_fmamk_f16 v22, v12, 0xbaee, v8
	v_fmac_f16_e32 v8, 0x3aee, v12
	v_mul_f16_e32 v12, 0xbaee, v11
	v_add_f16_e32 v21, v15, v13
	v_fmac_f16_e32 v18, 0.5, v22
	v_fmac_f16_e32 v20, 0x3aee, v22
	s_delay_alu instid0(VALU_DEP_4) | instskip(NEXT) | instid1(VALU_DEP_1)
	v_fmac_f16_e32 v12, -0.5, v8
	v_add_f16_e32 v23, v17, v12
	v_sub_f16_e32 v12, v17, v12
	v_add_f16_e32 v17, v14, v33
	v_fmac_f16_e32 v14, -0.5, v24
	v_add_f16_e32 v24, v16, v18
	s_delay_alu instid0(VALU_DEP_3) | instskip(NEXT) | instid1(VALU_DEP_1)
	v_add_f16_e32 v17, v17, v35
	v_add_f16_e32 v22, v17, v3
	v_sub_f16_e32 v3, v17, v3
	s_delay_alu instid0(VALU_DEP_2) | instskip(SKIP_3) | instid1(VALU_DEP_3)
	v_pack_b32_f16 v21, v21, v22
	v_fmamk_f16 v22, v7, 0x3aee, v14
	v_fmac_f16_e32 v14, 0xbaee, v7
	v_mul_f16_e32 v7, -0.5, v11
	v_add_f16_e32 v25, v22, v20
	s_delay_alu instid0(VALU_DEP_2) | instskip(SKIP_2) | instid1(VALU_DEP_4)
	v_fmac_f16_e32 v7, 0x3aee, v8
	v_sub_f16_e32 v8, v15, v13
	v_add_f16_e32 v15, v0, v10
	v_pack_b32_f16 v24, v24, v25
	s_delay_alu instid0(VALU_DEP_4) | instskip(NEXT) | instid1(VALU_DEP_4)
	v_add_f16_e32 v11, v14, v7
	v_pack_b32_f16 v3, v8, v3
	v_sub_f16_e32 v8, v22, v20
	v_sub_f16_e32 v7, v14, v7
	v_add_f16_e32 v14, v4, v6
	v_pack_b32_f16 v11, v23, v11
	ds_store_2addr_b32 v231, v21, v24 offset1:10
	v_pack_b32_f16 v7, v12, v7
	v_add_f16_e32 v12, v41, v5
	ds_store_2addr_b32 v231, v11, v3 offset0:20 offset1:30
	v_sub_f16_e32 v3, v16, v18
	v_lshrrev_b32_e32 v11, 16, v41
	s_delay_alu instid0(VALU_DEP_2) | instskip(SKIP_1) | instid1(VALU_DEP_3)
	v_pack_b32_f16 v3, v3, v8
	v_lshrrev_b32_e32 v8, 16, v140
	v_add_f16_e32 v17, v11, v1
	ds_store_2addr_b32 v231, v3, v7 offset0:40 offset1:50
	v_lshrrev_b32_e32 v3, 16, v19
	s_delay_alu instid0(VALU_DEP_1) | instskip(SKIP_1) | instid1(VALU_DEP_2)
	v_mul_f16_e32 v7, v8, v3
	v_mul_f16_e32 v8, v8, v19
	v_fmac_f16_e64 v7, v140, v19
	s_delay_alu instid0(VALU_DEP_2) | instskip(SKIP_1) | instid1(VALU_DEP_1)
	v_fma_f16 v3, v140, v3, -v8
	v_add_f16_e32 v8, v5, v2
	v_fmac_f16_e32 v41, -0.5, v8
	v_sub_f16_e32 v8, v1, v9
	v_add_f16_e32 v1, v1, v9
	v_add_f16_e32 v9, v17, v9
	s_delay_alu instid0(VALU_DEP_3)
	v_fmamk_f16 v13, v8, 0xbaee, v41
	v_fmac_f16_e32 v41, 0x3aee, v8
	v_add_f16_e32 v8, v6, v7
	v_sub_f16_e32 v6, v6, v7
	v_fmac_f16_e32 v11, -0.5, v1
	v_add_f16_e32 v1, v12, v2
	v_sub_f16_e32 v2, v5, v2
	v_fmac_f16_e32 v4, -0.5, v8
	v_add_f16_e32 v8, v10, v3
	v_add_f16_e32 v5, v14, v7
	s_delay_alu instid0(VALU_DEP_2) | instskip(NEXT) | instid1(VALU_DEP_1)
	v_fmac_f16_e32 v0, -0.5, v8
	v_fmamk_f16 v8, v6, 0x3aee, v0
	v_fmac_f16_e32 v0, 0xbaee, v6
	v_sub_f16_e32 v6, v10, v3
	v_add_f16_e32 v3, v15, v3
	s_delay_alu instid0(VALU_DEP_4) | instskip(SKIP_1) | instid1(VALU_DEP_4)
	v_mul_f16_e32 v7, 0xbaee, v8
	v_mul_f16_e32 v8, 0.5, v8
	v_fmamk_f16 v10, v6, 0xbaee, v4
	v_fmac_f16_e32 v4, 0x3aee, v6
	v_mul_f16_e32 v6, 0xbaee, v0
	v_add_f16_e32 v12, v9, v3
	v_mul_f16_e32 v0, -0.5, v0
	v_fmac_f16_e32 v7, 0.5, v10
	v_fmac_f16_e32 v8, 0x3aee, v10
	v_add_f16_e32 v10, v1, v5
	v_fmac_f16_e32 v6, -0.5, v4
	v_fmac_f16_e32 v0, 0x3aee, v4
	v_sub_f16_e32 v1, v1, v5
	v_add_f16_e32 v14, v13, v7
	v_pack_b32_f16 v10, v10, v12
	v_fmamk_f16 v12, v2, 0x3aee, v11
	v_fmac_f16_e32 v11, 0xbaee, v2
	v_add_f16_e32 v16, v41, v6
	v_sub_f16_e32 v2, v9, v3
	v_sub_f16_e32 v6, v41, v6
	v_add_f16_e32 v15, v12, v8
	v_add_f16_e32 v3, v11, v0
	v_sub_f16_e32 v0, v11, v0
	v_pack_b32_f16 v1, v1, v2
	v_sub_f16_e32 v2, v12, v8
	v_pack_b32_f16 v14, v14, v15
	v_pack_b32_f16 v3, v16, v3
	;; [unrolled: 1-line block ×3, first 2 shown]
	ds_store_2addr_b32 v226, v10, v14 offset1:10
	ds_store_2addr_b32 v226, v3, v1 offset0:20 offset1:30
	v_sub_f16_e32 v1, v13, v7
	v_lshrrev_b32_e32 v14, 16, v242
	s_delay_alu instid0(VALU_DEP_2)
	v_pack_b32_f16 v1, v1, v2
	ds_store_2addr_b32 v226, v1, v0 offset0:40 offset1:50
	global_wb scope:SCOPE_SE
	s_wait_dscnt 0x0
	s_barrier_signal -1
	s_barrier_wait -1
	global_inv scope:SCOPE_SE
	ds_load_2addr_b32 v[0:1], v107 offset0:128 offset1:224
	s_wait_dscnt 0x0
	v_lshrrev_b32_e32 v2, 16, v1
	v_mul_f16_e64 v3, v214, v1
	s_delay_alu instid0(VALU_DEP_2) | instskip(NEXT) | instid1(VALU_DEP_2)
	v_mul_f16_e64 v34, v214, v2
	v_fma_f16 v35, v73, v2, -v3
	ds_load_2addr_b32 v[2:3], v98 offset0:64 offset1:160
	v_fmac_f16_e32 v34, v73, v1
	s_wait_dscnt 0x0
	v_lshrrev_b32_e32 v4, 16, v2
	v_mul_f16_e64 v5, v173, v2
	s_delay_alu instid0(VALU_DEP_2) | instskip(NEXT) | instid1(VALU_DEP_2)
	v_mul_f16_e64 v15, v173, v4
	v_fma_f16 v24, v74, v4, -v5
	ds_load_2addr_b32 v[4:5], v127 offset0:64 offset1:160
	v_fmac_f16_e32 v15, v74, v2
	ds_load_2addr_b32 v[1:2], v191 offset0:64 offset1:160
	s_wait_dscnt 0x1
	v_lshrrev_b32_e32 v6, 16, v5
	v_mul_f16_e64 v7, v234, v5
	s_delay_alu instid0(VALU_DEP_2) | instskip(NEXT) | instid1(VALU_DEP_2)
	v_mul_f16_e64 v25, v234, v6
	v_fma_f16 v26, v75, v6, -v7
	ds_load_2addr_b32 v[6:7], v119 offset0:128 offset1:224
	v_fmac_f16_e32 v25, v75, v5
	v_lshrrev_b32_e32 v5, 16, v3
	s_delay_alu instid0(VALU_DEP_1) | instskip(NEXT) | instid1(VALU_DEP_1)
	v_mul_f16_e64 v37, v187, v5
	v_fmac_f16_e32 v37, v82, v3
	v_mul_f16_e64 v3, v187, v3
	s_wait_dscnt 0x0
	v_lshrrev_b32_e32 v8, 16, v6
	v_mul_f16_e64 v9, v171, v6
	s_delay_alu instid0(VALU_DEP_3) | instskip(NEXT) | instid1(VALU_DEP_3)
	v_fma_f16 v31, v82, v5, -v3
	v_mul_f16_e64 v27, v171, v8
	s_delay_alu instid0(VALU_DEP_3) | instskip(SKIP_2) | instid1(VALU_DEP_4)
	v_fma_f16 v29, v76, v8, -v9
	v_lshrrev_b32_e32 v8, 16, v7
	v_mul_f16_e64 v9, v167, v1
	v_fmac_f16_e32 v27, v76, v6
	v_lshrrev_b32_e32 v6, 16, v1
	s_delay_alu instid0(VALU_DEP_4) | instskip(SKIP_2) | instid1(VALU_DEP_4)
	v_mul_f16_e64 v39, v189, v8
	v_add_f16_e32 v47, v24, v29
	v_sub_f16_e32 v48, v24, v29
	v_mul_f16_e64 v32, v167, v6
	s_delay_alu instid0(VALU_DEP_4)
	v_fmac_f16_e32 v39, v84, v7
	v_mul_f16_e64 v7, v189, v7
	v_fma_f16 v33, v81, v6, -v9
	ds_load_2addr_b32 v[5:6], v95 offset1:96
	v_fmac_f16_e32 v32, v81, v1
	v_lshrrev_b32_e32 v1, 16, v2
	v_fma_f16 v44, v84, v8, -v7
	s_delay_alu instid0(VALU_DEP_2) | instskip(NEXT) | instid1(VALU_DEP_1)
	v_mul_f16_e32 v7, v105, v1
	v_fmac_f16_e64 v7, v246, v2
	v_mul_f16_e32 v2, v105, v2
	s_delay_alu instid0(VALU_DEP_1) | instskip(SKIP_4) | instid1(VALU_DEP_2)
	v_fma_f16 v16, v246, v1, -v2
	ds_load_2addr_b32 v[1:2], v129 offset0:128 offset1:224
	s_wait_dscnt 0x1
	v_lshrrev_b32_e32 v3, 16, v5
	v_mul_f16_e64 v9, v176, v5
	v_mul_f16_e64 v42, v176, v3
	s_delay_alu instid0(VALU_DEP_2) | instskip(SKIP_1) | instid1(VALU_DEP_3)
	v_fma_f16 v43, v83, v3, -v9
	v_lshrrev_b32_e32 v3, 16, v6
	v_fmac_f16_e32 v42, v83, v5
	v_mul_f16_e32 v5, v120, v6
	s_delay_alu instid0(VALU_DEP_3) | instskip(NEXT) | instid1(VALU_DEP_2)
	v_mul_f16_e32 v21, v120, v3
	v_fma_f16 v23, v248, v3, -v5
	s_delay_alu instid0(VALU_DEP_2) | instskip(SKIP_3) | instid1(VALU_DEP_2)
	v_fmac_f16_e64 v21, v248, v6
	s_wait_dscnt 0x0
	v_lshrrev_b32_e32 v6, 16, v1
	v_mul_f16_e32 v8, v90, v1
	v_mul_f16_e32 v28, v90, v6
	s_delay_alu instid0(VALU_DEP_2)
	v_fma_f16 v36, v247, v6, -v8
	ds_load_2addr_b32 v[5:6], v87 offset0:64 offset1:160
	v_fmac_f16_e64 v28, v247, v1
	s_wait_dscnt 0x0
	v_lshrrev_b32_e32 v3, 16, v5
	v_mul_f16_e32 v8, v104, v5
	v_lshrrev_b32_e32 v12, 16, v6
	v_mul_f16_e64 v13, v161, v6
	s_delay_alu instid0(VALU_DEP_4) | instskip(NEXT) | instid1(VALU_DEP_4)
	v_mul_f16_e32 v30, v104, v3
	v_fma_f16 v38, v249, v3, -v8
	v_lshrrev_b32_e32 v3, 16, v2
	v_mul_f16_e64 v17, v161, v12
	v_fma_f16 v22, v63, v12, -v13
	v_fmac_f16_e64 v30, v249, v5
	v_mul_f16_e64 v5, v172, v2
	v_mul_f16_e64 v11, v172, v3
	v_fmac_f16_e32 v17, v63, v6
	v_lshrrev_b32_e32 v12, 16, v241
	s_delay_alu instid0(VALU_DEP_4) | instskip(NEXT) | instid1(VALU_DEP_4)
	v_fma_f16 v20, v61, v3, -v5
	v_fmac_f16_e32 v11, v61, v2
	ds_load_2addr_b32 v[1:2], v135 offset1:96
	s_wait_dscnt 0x0
	v_lshrrev_b32_e32 v8, 16, v1
	v_mul_f16_e32 v9, v117, v1
	s_delay_alu instid0(VALU_DEP_2) | instskip(NEXT) | instid1(VALU_DEP_2)
	v_mul_f16_e32 v6, v117, v8
	v_fma_f16 v8, v60, v8, -v9
	ds_load_2addr_b32 v[9:10], v121 offset0:64 offset1:160
	v_fmac_f16_e32 v6, v60, v1
	s_wait_dscnt 0x0
	v_lshrrev_b32_e32 v3, 16, v9
	v_mul_f16_e32 v5, v109, v9
	v_lshrrev_b32_e32 v13, 16, v10
	s_delay_alu instid0(VALU_DEP_3) | instskip(NEXT) | instid1(VALU_DEP_3)
	v_mul_f16_e32 v19, v109, v3
	v_fma_f16 v18, v62, v3, -v5
	v_lshrrev_b32_e32 v5, 16, v2
	v_lshrrev_b32_e32 v3, 16, v240
	s_delay_alu instid0(VALU_DEP_4) | instskip(SKIP_1) | instid1(VALU_DEP_3)
	v_fmac_f16_e32 v19, v62, v9
	v_lshrrev_b32_e32 v9, 16, v4
	v_mul_f16_e32 v1, v3, v5
	s_delay_alu instid0(VALU_DEP_1) | instskip(SKIP_1) | instid1(VALU_DEP_4)
	v_fmac_f16_e64 v1, v240, v2
	v_mul_f16_e32 v2, v3, v2
	v_mul_f16_e32 v3, v12, v9
	;; [unrolled: 1-line block ×3, first 2 shown]
	s_delay_alu instid0(VALU_DEP_3) | instskip(NEXT) | instid1(VALU_DEP_3)
	v_fma_f16 v2, v240, v5, -v2
	v_fmac_f16_e64 v3, v241, v4
	v_mul_f16_e32 v4, v14, v13
	v_mul_f16_e32 v14, v14, v10
	v_fma_f16 v9, v241, v9, -v12
	s_delay_alu instid0(VALU_DEP_3) | instskip(NEXT) | instid1(VALU_DEP_3)
	v_fmac_f16_e64 v4, v242, v10
	v_fma_f16 v5, v242, v13, -v14
	ds_load_2addr_b32 v[13:14], v118 offset1:96
	v_lshrrev_b32_e32 v10, 16, v243
	s_wait_dscnt 0x0
	v_lshrrev_b32_e32 v12, 16, v13
	s_delay_alu instid0(VALU_DEP_2) | instskip(SKIP_1) | instid1(VALU_DEP_3)
	v_mul_f16_e32 v40, v10, v13
	v_mul_f16_e64 v41, v245, v14
	v_mul_f16_e32 v10, v10, v12
	s_delay_alu instid0(VALU_DEP_3) | instskip(NEXT) | instid1(VALU_DEP_2)
	v_fma_f16 v12, v243, v12, -v40
	v_fmac_f16_e64 v10, v243, v13
	v_lshrrev_b32_e32 v13, 16, v14
	s_delay_alu instid0(VALU_DEP_1) | instskip(SKIP_1) | instid1(VALU_DEP_2)
	v_mul_f16_e64 v40, v245, v13
	v_fma_f16 v41, v196, v13, -v41
	v_fmac_f16_e64 v40, v196, v14
	ds_load_2addr_b32 v[13:14], v128 offset1:96
	v_add_f16_e32 v49, v25, v40
	v_sub_f16_e32 v50, v25, v40
	s_wait_dscnt 0x0
	v_lshrrev_b32_e32 v45, 16, v13
	s_delay_alu instid0(VALU_DEP_1) | instskip(SKIP_3) | instid1(VALU_DEP_4)
	v_add_f16_e32 v46, v45, v24
	v_add_f16_e32 v24, v13, v15
	v_fmac_f16_e32 v45, -0.5, v47
	v_add_f16_e32 v47, v35, v26
	v_add_f16_e32 v29, v46, v29
	s_delay_alu instid0(VALU_DEP_4) | instskip(SKIP_4) | instid1(VALU_DEP_4)
	v_add_f16_e32 v46, v24, v27
	v_add_f16_e32 v24, v15, v27
	v_sub_f16_e32 v15, v15, v27
	v_add_f16_e32 v27, v26, v41
	v_add_f16_e32 v47, v47, v41
	v_fma_f16 v13, -0.5, v24, v13
	s_delay_alu instid0(VALU_DEP_4) | instskip(NEXT) | instid1(VALU_DEP_4)
	v_fmamk_f16 v57, v15, 0x3aee, v45
	v_fmac_f16_e32 v35, -0.5, v27
	v_add_f16_e32 v27, v34, v25
	v_fmac_f16_e32 v34, -0.5, v49
	v_sub_f16_e32 v49, v26, v41
	v_fmac_f16_e32 v45, 0xbaee, v15
	v_fmamk_f16 v25, v50, 0x3aee, v35
	v_fmac_f16_e32 v35, 0xbaee, v50
	v_add_f16_e32 v51, v27, v40
	v_fmamk_f16 v56, v48, 0xbaee, v13
	v_fmac_f16_e32 v13, 0x3aee, v48
	v_mul_f16_e32 v52, 0xbaee, v25
	v_mul_f16_e32 v53, 0.5, v25
	v_fmamk_f16 v25, v49, 0xbaee, v34
	v_fmac_f16_e32 v34, 0x3aee, v49
	v_mul_f16_e32 v15, 0xbaee, v35
	v_mul_f16_e32 v35, -0.5, v35
	v_add_f16_e32 v26, v29, v47
	v_fmac_f16_e32 v52, 0.5, v25
	v_fmac_f16_e32 v53, 0x3aee, v25
	v_fmac_f16_e32 v15, -0.5, v34
	v_fmac_f16_e32 v35, 0x3aee, v34
	v_add_f16_e32 v25, v46, v51
	v_sub_f16_e32 v34, v46, v51
	v_sub_f16_e32 v29, v29, v47
	v_add_f16_e32 v46, v13, v15
	v_add_f16_e32 v47, v45, v35
	v_pack_b32_f16 v54, v25, v26
	v_add_f16_e32 v24, v56, v52
	v_add_f16_e32 v25, v57, v53
	v_pack_b32_f16 v29, v34, v29
	v_pack_b32_f16 v46, v46, v47
	v_sub_f16_e32 v13, v13, v15
	v_sub_f16_e32 v15, v57, v53
	v_pack_b32_f16 v60, v24, v25
	ds_load_2addr_b32 v[24:25], v110 offset0:64 offset1:160
	ds_load_2addr_b32 v[26:27], v137 offset0:64 offset1:160
	;; [unrolled: 1-line block ×3, first 2 shown]
	global_wb scope:SCOPE_SE
	s_wait_dscnt 0x0
	s_barrier_signal -1
	s_barrier_wait -1
	global_inv scope:SCOPE_SE
	ds_store_2addr_b32 v169, v46, v29 offset0:120 offset1:180
	v_sub_f16_e32 v29, v56, v52
	v_sub_f16_e32 v34, v45, v35
	v_add_f16_e32 v35, v31, v44
	ds_store_2addr_b32 v169, v54, v60 offset1:60
	v_pack_b32_f16 v15, v29, v15
	scratch_load_b32 v29, off, off offset:264 th:TH_LOAD_LU ; 4-byte Folded Reload
	v_pack_b32_f16 v13, v13, v34
	v_add_f16_e32 v34, v14, v37
	s_delay_alu instid0(VALU_DEP_1) | instskip(SKIP_4) | instid1(VALU_DEP_1)
	v_add_f16_e32 v34, v34, v39
	s_wait_loadcnt 0x0
	ds_store_2addr_b32 v29, v15, v13 offset0:112 offset1:172
	v_lshrrev_b32_e32 v13, 16, v24
	v_lshrrev_b32_e32 v29, 16, v166
	v_mul_f16_e32 v15, v29, v24
	s_delay_alu instid0(VALU_DEP_3) | instskip(NEXT) | instid1(VALU_DEP_2)
	v_mul_f16_e32 v29, v29, v13
	v_fma_f16 v13, v166, v13, -v15
	s_delay_alu instid0(VALU_DEP_2) | instskip(SKIP_2) | instid1(VALU_DEP_2)
	v_fmac_f16_e64 v29, v166, v24
	v_add_f16_e32 v15, v37, v39
	v_lshrrev_b32_e32 v24, 16, v14
	v_fmac_f16_e32 v14, -0.5, v15
	s_delay_alu instid0(VALU_DEP_2)
	v_add_f16_e32 v15, v24, v31
	v_fmac_f16_e32 v24, -0.5, v35
	v_sub_f16_e32 v35, v37, v39
	v_add_f16_e32 v37, v43, v13
	v_sub_f16_e32 v31, v31, v44
	v_add_f16_e32 v15, v15, v44
	v_add_f16_e32 v39, v33, v43
	;; [unrolled: 1-line block ×3, first 2 shown]
	v_fmac_f16_e32 v33, -0.5, v37
	v_add_f16_e32 v37, v32, v42
	v_sub_f16_e32 v42, v42, v29
	v_fmamk_f16 v46, v35, 0x3aee, v24
	v_fmac_f16_e32 v32, -0.5, v44
	v_fmac_f16_e32 v24, 0xbaee, v35
	v_add_f16_e32 v29, v37, v29
	v_sub_f16_e32 v37, v43, v13
	v_add_f16_e32 v13, v39, v13
	v_fmamk_f16 v39, v42, 0x3aee, v33
	v_fmac_f16_e32 v33, 0xbaee, v42
	s_delay_alu instid0(VALU_DEP_4) | instskip(NEXT) | instid1(VALU_DEP_4)
	v_fmamk_f16 v44, v37, 0xbaee, v32
	v_add_f16_e32 v45, v15, v13
	s_delay_alu instid0(VALU_DEP_4) | instskip(SKIP_3) | instid1(VALU_DEP_4)
	v_mul_f16_e32 v43, 0xbaee, v39
	v_mul_f16_e32 v39, 0.5, v39
	v_fmac_f16_e32 v32, 0x3aee, v37
	v_sub_f16_e32 v13, v15, v13
	v_fmac_f16_e32 v43, 0.5, v44
	s_delay_alu instid0(VALU_DEP_4) | instskip(SKIP_2) | instid1(VALU_DEP_3)
	v_fmac_f16_e32 v39, 0x3aee, v44
	v_add_f16_e32 v44, v34, v29
	v_sub_f16_e32 v29, v34, v29
	v_add_f16_e32 v48, v46, v39
	s_delay_alu instid0(VALU_DEP_3)
	v_pack_b32_f16 v44, v44, v45
	v_fmamk_f16 v45, v31, 0xbaee, v14
	v_fmac_f16_e32 v14, 0x3aee, v31
	v_mul_f16_e32 v31, 0xbaee, v33
	v_mul_f16_e32 v33, -0.5, v33
	v_pack_b32_f16 v13, v29, v13
	v_sub_f16_e32 v29, v36, v38
	v_add_f16_e32 v47, v45, v43
	v_fmac_f16_e32 v31, -0.5, v32
	v_fmac_f16_e32 v33, 0x3aee, v32
	s_delay_alu instid0(VALU_DEP_3) | instskip(NEXT) | instid1(VALU_DEP_3)
	v_pack_b32_f16 v47, v47, v48
	v_add_f16_e32 v15, v14, v31
	s_delay_alu instid0(VALU_DEP_3)
	v_add_f16_e32 v32, v24, v33
	v_sub_f16_e32 v24, v24, v33
	ds_store_2addr_b32 v170, v44, v47 offset1:60
	v_pack_b32_f16 v15, v15, v32
	v_add_f16_e32 v32, v16, v23
	ds_store_2addr_b32 v170, v15, v13 offset0:120 offset1:180
	v_sub_f16_e32 v13, v14, v31
	v_sub_f16_e32 v14, v45, v43
	;; [unrolled: 1-line block ×3, first 2 shown]
	v_add_f16_e32 v31, v28, v30
	s_delay_alu instid0(VALU_DEP_4) | instskip(NEXT) | instid1(VALU_DEP_3)
	v_pack_b32_f16 v13, v13, v24
	v_pack_b32_f16 v14, v14, v15
	scratch_load_b32 v15, off, off offset:260 th:TH_LOAD_LU ; 4-byte Folded Reload
	s_wait_loadcnt 0x0
	ds_store_2addr_b32 v15, v14, v13 offset0:112 offset1:172
	v_lshrrev_b32_e32 v13, 16, v25
	v_lshrrev_b32_e32 v15, 16, v168
	s_delay_alu instid0(VALU_DEP_1) | instskip(SKIP_1) | instid1(VALU_DEP_2)
	v_mul_f16_e32 v14, v15, v13
	v_mul_f16_e32 v15, v15, v25
	v_fmac_f16_e64 v14, v168, v25
	s_delay_alu instid0(VALU_DEP_2) | instskip(SKIP_2) | instid1(VALU_DEP_4)
	v_fma_f16 v13, v168, v13, -v15
	v_lshrrev_b32_e32 v15, 16, v26
	v_add_f16_e32 v25, v36, v38
	v_add_f16_e32 v33, v21, v14
	s_delay_alu instid0(VALU_DEP_3) | instskip(NEXT) | instid1(VALU_DEP_3)
	v_add_f16_e32 v24, v15, v36
	v_fmac_f16_e32 v15, -0.5, v25
	v_add_f16_e32 v25, v26, v28
	v_sub_f16_e32 v28, v28, v30
	v_fma_f16 v26, -0.5, v31, v26
	v_add_f16_e32 v24, v24, v38
	s_delay_alu instid0(VALU_DEP_4)
	v_add_f16_e32 v25, v25, v30
	v_add_f16_e32 v30, v23, v13
	v_sub_f16_e32 v23, v23, v13
	v_add_f16_e32 v13, v32, v13
	v_fmamk_f16 v31, v29, 0xbaee, v26
	v_fmac_f16_e32 v26, 0x3aee, v29
	v_fmac_f16_e32 v16, -0.5, v30
	v_add_f16_e32 v30, v7, v21
	v_sub_f16_e32 v21, v21, v14
	v_fmac_f16_e32 v7, -0.5, v33
	v_add_f16_e32 v34, v24, v13
	v_sub_f16_e32 v13, v24, v13
	v_add_f16_e32 v14, v30, v14
	v_fmamk_f16 v30, v21, 0x3aee, v16
	v_fmamk_f16 v33, v23, 0xbaee, v7
	v_fmac_f16_e32 v16, 0xbaee, v21
	v_fmac_f16_e32 v7, 0x3aee, v23
	s_delay_alu instid0(VALU_DEP_4) | instskip(SKIP_1) | instid1(VALU_DEP_4)
	v_mul_f16_e32 v32, 0xbaee, v30
	v_mul_f16_e32 v30, 0.5, v30
	v_mul_f16_e32 v21, 0xbaee, v16
	v_mul_f16_e32 v16, -0.5, v16
	s_delay_alu instid0(VALU_DEP_4) | instskip(NEXT) | instid1(VALU_DEP_4)
	v_fmac_f16_e32 v32, 0.5, v33
	v_fmac_f16_e32 v30, 0x3aee, v33
	v_add_f16_e32 v33, v25, v14
	v_fmac_f16_e32 v21, -0.5, v7
	v_fmac_f16_e32 v16, 0x3aee, v7
	v_sub_f16_e32 v7, v25, v14
	v_add_f16_e32 v35, v31, v32
	v_pack_b32_f16 v33, v33, v34
	v_fmamk_f16 v34, v28, 0x3aee, v15
	v_fmac_f16_e32 v15, 0xbaee, v28
	v_add_f16_e32 v14, v26, v21
	v_pack_b32_f16 v7, v7, v13
	v_sub_f16_e32 v13, v26, v21
	v_add_f16_e32 v21, v20, v22
	v_add_f16_e32 v23, v15, v16
	v_sub_f16_e32 v15, v15, v16
	v_add_f16_e32 v16, v27, v11
	v_add_f16_e32 v36, v34, v30
	s_delay_alu instid0(VALU_DEP_4) | instskip(NEXT) | instid1(VALU_DEP_4)
	v_pack_b32_f16 v14, v14, v23
	v_pack_b32_f16 v13, v13, v15
	v_lshrrev_b32_e32 v15, 16, v27
	v_add_f16_e32 v16, v16, v17
	v_pack_b32_f16 v35, v35, v36
	ds_store_2addr_b32 v179, v14, v7 offset0:120 offset1:180
	v_sub_f16_e32 v7, v31, v32
	v_sub_f16_e32 v14, v34, v30
	v_add_nc_u32_e32 v36, 0x1200, v128
	ds_store_2addr_b32 v179, v33, v35 offset1:60
	v_pack_b32_f16 v7, v7, v14
	scratch_load_b32 v14, off, off offset:276 th:TH_LOAD_LU ; 4-byte Folded Reload
	s_wait_loadcnt 0x0
	ds_store_2addr_b32 v14, v7, v13 offset0:112 offset1:172
	v_lshrrev_b32_e32 v14, 16, v165
	v_lshrrev_b32_e32 v7, 16, v40
	s_delay_alu instid0(VALU_DEP_2) | instskip(NEXT) | instid1(VALU_DEP_2)
	v_mul_f16_e32 v13, v14, v40
	v_mul_f16_e32 v14, v14, v7
	s_delay_alu instid0(VALU_DEP_2) | instskip(SKIP_1) | instid1(VALU_DEP_3)
	v_fma_f16 v7, v165, v7, -v13
	v_add_f16_e32 v13, v11, v17
	v_fmac_f16_e64 v14, v165, v40
	v_sub_f16_e32 v11, v11, v17
	s_delay_alu instid0(VALU_DEP_4) | instskip(NEXT) | instid1(VALU_DEP_4)
	v_add_f16_e32 v17, v18, v7
	v_fmac_f16_e32 v27, -0.5, v13
	v_add_f16_e32 v13, v15, v20
	v_sub_f16_e32 v20, v20, v22
	v_fmac_f16_e32 v15, -0.5, v21
	v_add_f16_e32 v21, v8, v18
	v_fmac_f16_e32 v8, -0.5, v17
	v_add_f16_e32 v13, v13, v22
	v_add_f16_e32 v17, v6, v19
	;; [unrolled: 1-line block ×3, first 2 shown]
	v_sub_f16_e32 v19, v19, v14
	v_fmamk_f16 v24, v11, 0x3aee, v15
	v_fmac_f16_e32 v15, 0xbaee, v11
	v_add_f16_e32 v14, v17, v14
	v_fmac_f16_e32 v6, -0.5, v22
	v_sub_f16_e32 v17, v18, v7
	v_fmamk_f16 v18, v19, 0x3aee, v8
	v_add_f16_e32 v7, v21, v7
	v_fmac_f16_e32 v8, 0xbaee, v19
	s_delay_alu instid0(VALU_DEP_4) | instskip(NEXT) | instid1(VALU_DEP_4)
	v_fmamk_f16 v22, v17, 0xbaee, v6
	v_mul_f16_e32 v21, 0xbaee, v18
	v_mul_f16_e32 v18, 0.5, v18
	v_add_f16_e32 v23, v13, v7
	v_fmac_f16_e32 v6, 0x3aee, v17
	v_mul_f16_e32 v11, 0xbaee, v8
	v_fmac_f16_e32 v21, 0.5, v22
	v_fmac_f16_e32 v18, 0x3aee, v22
	v_add_f16_e32 v22, v16, v14
	v_mul_f16_e32 v8, -0.5, v8
	v_fmac_f16_e32 v11, -0.5, v6
	v_sub_f16_e32 v7, v13, v7
	v_add_f16_e32 v26, v24, v18
	v_pack_b32_f16 v22, v22, v23
	v_fmamk_f16 v23, v20, 0xbaee, v27
	v_fmac_f16_e32 v27, 0x3aee, v20
	v_fmac_f16_e32 v8, 0x3aee, v6
	v_sub_f16_e32 v6, v16, v14
	s_delay_alu instid0(VALU_DEP_4) | instskip(NEXT) | instid1(VALU_DEP_4)
	v_add_f16_e32 v25, v23, v21
	v_add_f16_e32 v13, v27, v11
	s_delay_alu instid0(VALU_DEP_4) | instskip(NEXT) | instid1(VALU_DEP_4)
	v_add_f16_e32 v14, v15, v8
	v_pack_b32_f16 v6, v6, v7
	v_sub_f16_e32 v8, v15, v8
	v_sub_f16_e32 v7, v23, v21
	v_pack_b32_f16 v25, v25, v26
	v_pack_b32_f16 v13, v13, v14
	v_add_f16_e32 v14, v9, v12
	ds_store_2addr_b32 v177, v22, v25 offset1:60
	ds_store_2addr_b32 v177, v13, v6 offset0:120 offset1:180
	v_sub_f16_e32 v6, v27, v11
	v_sub_f16_e32 v11, v24, v18
	v_add_f16_e32 v13, v0, v3
	s_delay_alu instid0(VALU_DEP_3)
	v_pack_b32_f16 v6, v6, v8
	scratch_load_b32 v8, off, off offset:272 th:TH_LOAD_LU ; 4-byte Folded Reload
	v_pack_b32_f16 v7, v7, v11
	v_lshrrev_b32_e32 v11, 16, v0
	s_wait_loadcnt 0x0
	ds_store_2addr_b32 v8, v7, v6 offset0:112 offset1:172
	v_lshrrev_b32_e32 v6, 16, v41
	v_lshrrev_b32_e32 v8, 16, v162
	s_delay_alu instid0(VALU_DEP_1) | instskip(SKIP_1) | instid1(VALU_DEP_2)
	v_mul_f16_e32 v7, v8, v6
	v_mul_f16_e32 v8, v8, v41
	v_fmac_f16_e64 v7, v162, v41
	s_delay_alu instid0(VALU_DEP_2) | instskip(SKIP_2) | instid1(VALU_DEP_2)
	v_fma_f16 v6, v162, v6, -v8
	v_add_f16_e32 v8, v3, v10
	v_sub_f16_e32 v3, v3, v10
	v_fmac_f16_e32 v0, -0.5, v8
	v_add_f16_e32 v8, v11, v9
	v_sub_f16_e32 v9, v9, v12
	v_fmac_f16_e32 v11, -0.5, v14
	v_add_f16_e32 v14, v4, v7
	s_delay_alu instid0(VALU_DEP_4)
	v_add_f16_e32 v8, v8, v12
	v_add_f16_e32 v12, v13, v10
	;; [unrolled: 1-line block ×4, first 2 shown]
	v_sub_f16_e32 v5, v5, v6
	v_fmamk_f16 v16, v3, 0x3aee, v11
	v_fmac_f16_e32 v11, 0xbaee, v3
	v_fmac_f16_e32 v2, -0.5, v10
	v_add_f16_e32 v10, v1, v4
	v_sub_f16_e32 v4, v4, v7
	v_fmac_f16_e32 v1, -0.5, v14
	v_add_f16_e32 v6, v13, v6
	s_delay_alu instid0(VALU_DEP_4) | instskip(NEXT) | instid1(VALU_DEP_4)
	v_add_f16_e32 v7, v10, v7
	v_fmamk_f16 v10, v4, 0x3aee, v2
	s_delay_alu instid0(VALU_DEP_4)
	v_fmamk_f16 v14, v5, 0xbaee, v1
	v_fmac_f16_e32 v2, 0xbaee, v4
	v_add_f16_e32 v15, v8, v6
	v_fmac_f16_e32 v1, 0x3aee, v5
	v_mul_f16_e32 v13, 0xbaee, v10
	v_mul_f16_e32 v10, 0.5, v10
	v_mul_f16_e32 v3, 0xbaee, v2
	v_mul_f16_e32 v2, -0.5, v2
	v_sub_f16_e32 v4, v8, v6
	v_fmac_f16_e32 v13, 0.5, v14
	v_fmac_f16_e32 v10, 0x3aee, v14
	v_add_f16_e32 v14, v12, v7
	v_fmac_f16_e32 v3, -0.5, v1
	v_fmac_f16_e32 v2, 0x3aee, v1
	v_sub_f16_e32 v1, v12, v7
	v_add_f16_e32 v18, v16, v10
	v_pack_b32_f16 v14, v14, v15
	v_fmamk_f16 v15, v9, 0xbaee, v0
	v_fmac_f16_e32 v0, 0x3aee, v9
	v_add_f16_e32 v6, v11, v2
	v_sub_f16_e32 v2, v11, v2
	v_pack_b32_f16 v1, v1, v4
	v_add_f16_e32 v17, v15, v13
	v_add_f16_e32 v5, v0, v3
	v_sub_f16_e32 v0, v0, v3
	v_sub_f16_e32 v3, v16, v10
	s_delay_alu instid0(VALU_DEP_4) | instskip(NEXT) | instid1(VALU_DEP_4)
	v_pack_b32_f16 v17, v17, v18
	v_pack_b32_f16 v5, v5, v6
	s_delay_alu instid0(VALU_DEP_4) | instskip(SKIP_4) | instid1(VALU_DEP_1)
	v_pack_b32_f16 v0, v0, v2
	scratch_load_b32 v2, off, off offset:268 th:TH_LOAD_LU ; 4-byte Folded Reload
	ds_store_2addr_b32 v175, v14, v17 offset1:60
	ds_store_2addr_b32 v175, v5, v1 offset0:120 offset1:180
	v_sub_f16_e32 v1, v15, v13
	v_pack_b32_f16 v1, v1, v3
	s_wait_loadcnt 0x0
	ds_store_2addr_b32 v2, v1, v0 offset0:112 offset1:172
	global_wb scope:SCOPE_SE
	s_wait_dscnt 0x0
	s_barrier_signal -1
	s_barrier_wait -1
	global_inv scope:SCOPE_SE
	ds_load_2addr_b32 v[0:1], v95 offset1:96
	s_wait_dscnt 0x0
	v_lshrrev_b32_e32 v2, 16, v0
	v_mul_f16_e32 v3, v97, v0
	s_delay_alu instid0(VALU_DEP_2) | instskip(NEXT) | instid1(VALU_DEP_2)
	v_mul_f16_e32 v4, v97, v2
	v_fma_f16 v3, v70, v2, -v3
	v_mul_f16_e64 v2, v156, v1
	s_delay_alu instid0(VALU_DEP_3) | instskip(SKIP_1) | instid1(VALU_DEP_1)
	v_fmac_f16_e32 v4, v70, v0
	v_lshrrev_b32_e32 v0, 16, v1
	v_mul_f16_e64 v25, v156, v0
	s_delay_alu instid0(VALU_DEP_4) | instskip(NEXT) | instid1(VALU_DEP_2)
	v_fma_f16 v26, v106, v0, -v2
	v_fmac_f16_e32 v25, v106, v1
	ds_load_2addr_b32 v[0:1], v127 offset0:64 offset1:160
	s_wait_dscnt 0x0
	v_lshrrev_b32_e32 v2, 16, v1
	v_mul_f16_e32 v5, v103, v1
	s_delay_alu instid0(VALU_DEP_2) | instskip(NEXT) | instid1(VALU_DEP_2)
	v_mul_f16_e32 v6, v103, v2
	v_fma_f16 v5, v138, v2, -v5
	s_delay_alu instid0(VALU_DEP_2)
	v_fmac_f16_e64 v6, v138, v1
	ds_load_2addr_b32 v[1:2], v128 offset1:96
	s_wait_dscnt 0x0
	v_sub_f16_e32 v27, v2, v4
	v_lshrrev_b32_e32 v4, 16, v1
	v_sub_f16_e32 v6, v1, v6
	v_lshrrev_b32_e32 v7, 16, v2
	s_delay_alu instid0(VALU_DEP_4) | instskip(NEXT) | instid1(VALU_DEP_4)
	v_fma_f16 v2, v2, 2.0, -v27
	v_sub_f16_e32 v5, v4, v5
	s_delay_alu instid0(VALU_DEP_4) | instskip(NEXT) | instid1(VALU_DEP_4)
	v_fma_f16 v1, v1, 2.0, -v6
	v_sub_f16_e32 v30, v7, v3
	s_delay_alu instid0(VALU_DEP_3) | instskip(SKIP_1) | instid1(VALU_DEP_3)
	v_fma_f16 v4, v4, 2.0, -v5
	v_pack_b32_f16 v29, v6, v5
	v_pack_b32_f16 v27, v27, v30
	s_delay_alu instid0(VALU_DEP_3) | instskip(SKIP_1) | instid1(VALU_DEP_1)
	v_pack_b32_f16 v28, v1, v4
	v_fma_f16 v1, v7, 2.0, -v30
	v_pack_b32_f16 v31, v2, v1
	ds_load_2addr_b32 v[1:2], v137 offset0:64 offset1:160
	ds_load_2addr_b32 v[3:4], v121 offset0:64 offset1:160
	ds_load_2addr_b32 v[5:6], v107 offset0:128 offset1:224
	ds_load_2addr_b32 v[7:8], v119 offset0:128 offset1:224
	ds_load_2addr_b32 v[9:10], v191 offset0:64 offset1:160
	ds_load_2addr_b32 v[11:12], v87 offset0:64 offset1:160
	ds_load_2addr_b32 v[13:14], v135 offset1:96
	ds_load_2addr_b32 v[15:16], v118 offset1:96
	ds_load_2addr_b32 v[17:18], v98 offset0:64 offset1:160
	ds_load_2addr_b32 v[19:20], v110 offset0:64 offset1:160
	;; [unrolled: 1-line block ×4, first 2 shown]
	global_wb scope:SCOPE_SE
	s_wait_dscnt 0x0
	s_barrier_signal -1
	s_barrier_wait -1
	global_inv scope:SCOPE_SE
	ds_store_b32 v128, v29 offset:1440
	ds_store_2addr_b32 v128, v28, v31 offset1:96
	v_lshrrev_b32_e32 v28, 16, v1
	v_sub_f16_e32 v25, v1, v25
	s_delay_alu instid0(VALU_DEP_2) | instskip(NEXT) | instid1(VALU_DEP_2)
	v_sub_f16_e32 v26, v28, v26
	v_fma_f16 v1, v1, 2.0, -v25
	v_mul_f16_e64 v30, v255, v20
	s_delay_alu instid0(VALU_DEP_3) | instskip(SKIP_2) | instid1(VALU_DEP_3)
	v_fma_f16 v28, v28, 2.0, -v26
	v_pack_b32_f16 v25, v25, v26
	v_mul_f16_e64 v32, v146, v24
	v_pack_b32_f16 v1, v1, v28
	v_mul_f16_e32 v28, v124, v16
	ds_store_b32 v128, v1 offset:768
	v_add_nc_u32_e32 v1, 0x600, v128
	ds_store_2addr_b32 v1, v27, v25 offset0:72 offset1:168
	v_lshrrev_b32_e32 v1, 16, v3
	v_mul_f16_e64 v25, v136, v3
	v_mul_f16_e64 v27, v139, v4
	s_delay_alu instid0(VALU_DEP_3) | instskip(NEXT) | instid1(VALU_DEP_3)
	v_mul_f16_e64 v26, v136, v1
	v_fma_f16 v1, v164, v1, -v25
	s_delay_alu instid0(VALU_DEP_2) | instskip(SKIP_1) | instid1(VALU_DEP_1)
	v_fmac_f16_e64 v26, v164, v3
	v_lshrrev_b32_e32 v3, 16, v4
	v_mul_f16_e64 v25, v139, v3
	v_fma_f16 v3, v225, v3, -v27
	s_delay_alu instid0(VALU_DEP_2) | instskip(SKIP_2) | instid1(VALU_DEP_2)
	v_fmac_f16_e64 v25, v225, v4
	v_sub_f16_e32 v4, v2, v26
	v_lshrrev_b32_e32 v26, 16, v2
	v_fma_f16 v2, v2, 2.0, -v4
	s_delay_alu instid0(VALU_DEP_2) | instskip(NEXT) | instid1(VALU_DEP_1)
	v_sub_f16_e32 v1, v26, v1
	v_fma_f16 v26, v26, 2.0, -v1
	v_pack_b32_f16 v1, v4, v1
	s_delay_alu instid0(VALU_DEP_2)
	v_pack_b32_f16 v2, v2, v26
	ds_store_b32 v141, v2
	ds_store_b32 v141, v1 offset:1440
	v_lshrrev_b32_e32 v1, 16, v7
	v_mul_f16_e64 v2, v244, v7
	v_mul_f16_e64 v26, v251, v12
	s_delay_alu instid0(VALU_DEP_3) | instskip(NEXT) | instid1(VALU_DEP_3)
	v_mul_f16_e64 v4, v244, v1
	v_fma_f16 v1, v216, v1, -v2
	v_sub_f16_e32 v2, v5, v25
	v_lshrrev_b32_e32 v25, 16, v6
	s_delay_alu instid0(VALU_DEP_4) | instskip(SKIP_1) | instid1(VALU_DEP_4)
	v_fmac_f16_e64 v4, v216, v7
	v_lshrrev_b32_e32 v7, 16, v5
	v_fma_f16 v5, v5, 2.0, -v2
	s_delay_alu instid0(VALU_DEP_4) | instskip(NEXT) | instid1(VALU_DEP_4)
	v_sub_f16_e32 v1, v25, v1
	v_sub_f16_e32 v4, v6, v4
	s_delay_alu instid0(VALU_DEP_4) | instskip(NEXT) | instid1(VALU_DEP_2)
	v_sub_f16_e32 v3, v7, v3
	v_fma_f16 v6, v6, 2.0, -v4
	s_delay_alu instid0(VALU_DEP_2) | instskip(SKIP_2) | instid1(VALU_DEP_3)
	v_fma_f16 v7, v7, 2.0, -v3
	v_pack_b32_f16 v2, v2, v3
	v_lshrrev_b32_e32 v3, 16, v9
	v_pack_b32_f16 v5, v5, v7
	v_fma_f16 v7, v25, 2.0, -v1
	v_pack_b32_f16 v1, v4, v1
	s_delay_alu instid0(VALU_DEP_2) | instskip(SKIP_4) | instid1(VALU_DEP_2)
	v_pack_b32_f16 v6, v6, v7
	v_add_nc_u32_e32 v7, 0xa00, v128
	ds_store_2addr_b32 v7, v5, v6 offset0:104 offset1:200
	v_lshrrev_b32_e32 v5, 16, v8
	v_mul_f16_e32 v7, v126, v8
	v_mul_f16_e32 v6, v126, v5
	s_delay_alu instid0(VALU_DEP_2) | instskip(SKIP_1) | instid1(VALU_DEP_3)
	v_fma_f16 v5, v208, v5, -v7
	v_lshrrev_b32_e32 v7, 16, v11
	v_fmac_f16_e64 v6, v208, v8
	s_delay_alu instid0(VALU_DEP_3) | instskip(SKIP_1) | instid1(VALU_DEP_4)
	v_sub_f16_e32 v5, v3, v5
	v_mul_f16_e64 v8, v252, v11
	v_mul_f16_e64 v25, v252, v7
	s_delay_alu instid0(VALU_DEP_4) | instskip(NEXT) | instid1(VALU_DEP_4)
	v_sub_f16_e32 v6, v9, v6
	v_fma_f16 v3, v3, 2.0, -v5
	s_delay_alu instid0(VALU_DEP_4) | instskip(NEXT) | instid1(VALU_DEP_4)
	v_fma_f16 v7, v206, v7, -v8
	v_fmac_f16_e64 v25, v206, v11
	v_lshrrev_b32_e32 v8, 16, v12
	v_fma_f16 v9, v9, 2.0, -v6
	s_delay_alu instid0(VALU_DEP_2) | instskip(NEXT) | instid1(VALU_DEP_2)
	v_mul_f16_e64 v11, v251, v8
	v_pack_b32_f16 v3, v9, v3
	v_fma_f16 v8, v230, v8, -v26
	v_mul_f16_e64 v26, v254, v15
	s_delay_alu instid0(VALU_DEP_4)
	v_fmac_f16_e64 v11, v230, v12
	ds_store_2addr_b32 v98, v3, v2 offset0:40 offset1:208
	v_pack_b32_f16 v2, v6, v5
	v_lshrrev_b32_e32 v12, 16, v15
	ds_store_2addr_b32 v36, v1, v2 offset0:48 offset1:144
	v_lshrrev_b32_e32 v2, 16, v10
	v_sub_f16_e32 v1, v10, v25
	v_mul_f16_e64 v27, v254, v12
	v_fma_f16 v12, v228, v12, -v26
	s_delay_alu instid0(VALU_DEP_4) | instskip(NEXT) | instid1(VALU_DEP_4)
	v_sub_f16_e32 v4, v2, v7
	v_fma_f16 v3, v10, 2.0, -v1
	s_delay_alu instid0(VALU_DEP_4) | instskip(SKIP_1) | instid1(VALU_DEP_4)
	v_fmac_f16_e64 v27, v228, v15
	v_lshrrev_b32_e32 v15, 16, v16
	v_fma_f16 v2, v2, 2.0, -v4
	v_pack_b32_f16 v1, v1, v4
	s_delay_alu instid0(VALU_DEP_3) | instskip(SKIP_1) | instid1(VALU_DEP_4)
	v_mul_f16_e32 v26, v124, v15
	v_fma_f16 v15, v227, v15, -v28
	v_pack_b32_f16 v2, v3, v2
	ds_store_b32 v94, v2
	ds_store_b32 v94, v1 offset:1440
	v_lshrrev_b32_e32 v1, 16, v13
	v_sub_f16_e32 v3, v13, v11
	v_fmac_f16_e64 v26, v227, v16
	v_lshrrev_b32_e32 v16, 16, v19
	v_mul_f16_e32 v28, v125, v19
	v_sub_f16_e32 v2, v1, v8
	v_fma_f16 v4, v13, 2.0, -v3
	s_delay_alu instid0(VALU_DEP_4) | instskip(NEXT) | instid1(VALU_DEP_4)
	v_mul_f16_e32 v29, v125, v16
	v_fma_f16 v16, v221, v16, -v28
	s_delay_alu instid0(VALU_DEP_4)
	v_fma_f16 v1, v1, 2.0, -v2
	v_pack_b32_f16 v2, v3, v2
	v_sub_f16_e32 v3, v14, v27
	v_fmac_f16_e64 v29, v221, v19
	v_lshrrev_b32_e32 v19, 16, v20
	v_pack_b32_f16 v1, v4, v1
	v_lshrrev_b32_e32 v4, 16, v14
	v_fma_f16 v5, v14, 2.0, -v3
	ds_store_b32 v204, v1 offset:5760
	ds_store_b32 v204, v2 offset:7200
	v_sub_f16_e32 v6, v4, v12
	v_lshrrev_b32_e32 v2, 16, v17
	v_mul_f16_e64 v28, v255, v19
	v_fma_f16 v19, v222, v19, -v30
	v_mul_f16_e32 v30, v122, v23
	v_fma_f16 v4, v4, 2.0, -v6
	v_pack_b32_f16 v1, v3, v6
	v_sub_f16_e32 v3, v2, v15
	v_fmac_f16_e64 v28, v222, v20
	v_lshrrev_b32_e32 v20, 16, v23
	v_pack_b32_f16 v4, v5, v4
	v_sub_f16_e32 v5, v17, v26
	v_fma_f16 v2, v2, 2.0, -v3
	ds_store_b32 v201, v4 offset:5760
	ds_store_b32 v201, v1 offset:7200
	v_fma_f16 v6, v17, 2.0, -v5
	v_pack_b32_f16 v1, v5, v3
	v_mul_f16_e32 v31, v122, v20
	v_fma_f16 v20, v219, v20, -v30
	s_delay_alu instid0(VALU_DEP_4)
	v_pack_b32_f16 v2, v6, v2
	ds_store_b32 v202, v2 offset:5760
	ds_store_b32 v202, v1 offset:7200
	v_lshrrev_b32_e32 v2, 16, v18
	v_sub_f16_e32 v1, v18, v29
	v_fmac_f16_e64 v31, v219, v23
	v_lshrrev_b32_e32 v23, 16, v24
	s_delay_alu instid0(VALU_DEP_4) | instskip(NEXT) | instid1(VALU_DEP_4)
	v_sub_f16_e32 v4, v2, v16
	v_fma_f16 v3, v18, 2.0, -v1
	s_delay_alu instid0(VALU_DEP_3) | instskip(SKIP_1) | instid1(VALU_DEP_4)
	v_mul_f16_e64 v30, v146, v23
	v_fma_f16 v23, v217, v23, -v32
	v_fma_f16 v2, v2, 2.0, -v4
	v_pack_b32_f16 v1, v1, v4
	s_delay_alu instid0(VALU_DEP_4) | instskip(NEXT) | instid1(VALU_DEP_3)
	v_fmac_f16_e64 v30, v217, v24
	v_pack_b32_f16 v2, v3, v2
	ds_store_b32 v163, v2
	ds_store_b32 v163, v1 offset:1440
	v_lshrrev_b32_e32 v1, 16, v21
	v_sub_f16_e32 v3, v21, v28
	s_delay_alu instid0(VALU_DEP_2) | instskip(NEXT) | instid1(VALU_DEP_2)
	v_sub_f16_e32 v2, v1, v19
	v_fma_f16 v4, v21, 2.0, -v3
	s_delay_alu instid0(VALU_DEP_2) | instskip(SKIP_2) | instid1(VALU_DEP_3)
	v_fma_f16 v1, v1, 2.0, -v2
	v_pack_b32_f16 v2, v3, v2
	v_sub_f16_e32 v3, v22, v31
	v_pack_b32_f16 v1, v4, v1
	v_lshrrev_b32_e32 v4, 16, v22
	s_delay_alu instid0(VALU_DEP_3) | instskip(SKIP_4) | instid1(VALU_DEP_2)
	v_fma_f16 v5, v22, 2.0, -v3
	ds_store_b32 v195, v1 offset:8640
	ds_store_b32 v195, v2 offset:10080
	v_sub_f16_e32 v6, v4, v20
	v_sub_f16_e32 v2, v0, v30
	v_fma_f16 v4, v4, 2.0, -v6
	v_pack_b32_f16 v1, v3, v6
	v_lshrrev_b32_e32 v3, 16, v0
	s_delay_alu instid0(VALU_DEP_4) | instskip(NEXT) | instid1(VALU_DEP_4)
	v_fma_f16 v0, v0, 2.0, -v2
	v_pack_b32_f16 v4, v5, v4
	ds_store_b32 v193, v4 offset:8640
	ds_store_b32 v193, v1 offset:10080
	v_sub_f16_e32 v5, v3, v23
	s_delay_alu instid0(VALU_DEP_1) | instskip(SKIP_1) | instid1(VALU_DEP_2)
	v_fma_f16 v3, v3, 2.0, -v5
	v_pack_b32_f16 v1, v2, v5
	v_pack_b32_f16 v0, v0, v3
	ds_store_b32 v192, v0 offset:8640
	ds_store_b32 v192, v1 offset:10080
	global_wb scope:SCOPE_SE
	s_wait_dscnt 0x0
	s_barrier_signal -1
	s_barrier_wait -1
	global_inv scope:SCOPE_SE
	ds_load_2addr_b32 v[0:1], v95 offset1:96
	s_wait_dscnt 0x0
	v_lshrrev_b32_e32 v2, 16, v0
	v_mul_f16_e32 v3, v89, v0
	s_delay_alu instid0(VALU_DEP_2) | instskip(NEXT) | instid1(VALU_DEP_2)
	v_mul_f16_e32 v4, v89, v2
	v_fma_f16 v3, v67, v2, -v3
	v_mul_f16_e32 v2, v69, v1
	s_delay_alu instid0(VALU_DEP_3) | instskip(SKIP_1) | instid1(VALU_DEP_1)
	v_fmac_f16_e32 v4, v67, v0
	v_lshrrev_b32_e32 v0, 16, v1
	v_mul_f16_e32 v21, v69, v0
	s_delay_alu instid0(VALU_DEP_4) | instskip(NEXT) | instid1(VALU_DEP_2)
	v_fma_f16 v22, v72, v0, -v2
	v_fmac_f16_e32 v21, v72, v1
	ds_load_2addr_b32 v[0:1], v121 offset0:64 offset1:160
	s_wait_dscnt 0x0
	v_lshrrev_b32_e32 v2, 16, v0
	v_mul_f16_e32 v5, v71, v0
	s_delay_alu instid0(VALU_DEP_2) | instskip(NEXT) | instid1(VALU_DEP_2)
	v_mul_f16_e32 v23, v71, v2
	v_fma_f16 v24, v68, v2, -v5
	v_mul_f16_e64 v2, v150, v1
	s_delay_alu instid0(VALU_DEP_3) | instskip(SKIP_1) | instid1(VALU_DEP_1)
	v_fmac_f16_e32 v23, v68, v0
	v_lshrrev_b32_e32 v0, 16, v1
	v_mul_f16_e64 v25, v150, v0
	s_delay_alu instid0(VALU_DEP_4) | instskip(NEXT) | instid1(VALU_DEP_2)
	v_fma_f16 v26, v232, v0, -v2
	v_fmac_f16_e64 v25, v232, v1
	ds_load_2addr_b32 v[0:1], v119 offset0:128 offset1:224
	s_wait_dscnt 0x0
	v_lshrrev_b32_e32 v2, 16, v0
	v_mul_f16_e32 v5, v88, v0
	s_delay_alu instid0(VALU_DEP_2) | instskip(NEXT) | instid1(VALU_DEP_2)
	v_mul_f16_e32 v27, v88, v2
	v_fma_f16 v28, v55, v2, -v5
	v_mul_f16_e32 v2, v91, v1
	s_delay_alu instid0(VALU_DEP_3) | instskip(SKIP_1) | instid1(VALU_DEP_1)
	v_fmac_f16_e32 v27, v55, v0
	v_lshrrev_b32_e32 v0, 16, v1
	v_mul_f16_e32 v29, v91, v0
	s_delay_alu instid0(VALU_DEP_4) | instskip(NEXT) | instid1(VALU_DEP_2)
	v_fma_f16 v30, v59, v0, -v2
	v_fmac_f16_e32 v29, v59, v1
	ds_load_2addr_b32 v[0:1], v127 offset0:64 offset1:160
	s_wait_dscnt 0x0
	v_lshrrev_b32_e32 v2, 16, v1
	v_mul_f16_e64 v5, v143, v1
	s_delay_alu instid0(VALU_DEP_2) | instskip(NEXT) | instid1(VALU_DEP_2)
	v_mul_f16_e64 v6, v143, v2
	v_fma_f16 v5, v200, v2, -v5
	s_delay_alu instid0(VALU_DEP_2)
	v_fmac_f16_e64 v6, v200, v1
	ds_load_2addr_b32 v[1:2], v128 offset1:96
	s_wait_dscnt 0x0
	v_sub_f16_e32 v31, v2, v4
	v_lshrrev_b32_e32 v4, 16, v1
	v_sub_f16_e32 v6, v1, v6
	v_lshrrev_b32_e32 v7, 16, v2
	s_delay_alu instid0(VALU_DEP_4) | instskip(NEXT) | instid1(VALU_DEP_4)
	v_fma_f16 v2, v2, 2.0, -v31
	v_sub_f16_e32 v5, v4, v5
	s_delay_alu instid0(VALU_DEP_4) | instskip(NEXT) | instid1(VALU_DEP_4)
	v_fma_f16 v1, v1, 2.0, -v6
	v_sub_f16_e32 v34, v7, v3
	s_delay_alu instid0(VALU_DEP_3) | instskip(SKIP_1) | instid1(VALU_DEP_3)
	v_fma_f16 v4, v4, 2.0, -v5
	v_pack_b32_f16 v33, v6, v5
	v_pack_b32_f16 v31, v31, v34
	s_delay_alu instid0(VALU_DEP_3) | instskip(SKIP_1) | instid1(VALU_DEP_1)
	v_pack_b32_f16 v32, v1, v4
	v_fma_f16 v1, v7, 2.0, -v34
	v_pack_b32_f16 v35, v2, v1
	ds_load_2addr_b32 v[1:2], v137 offset0:64 offset1:160
	ds_load_2addr_b32 v[3:4], v87 offset0:64 offset1:160
	ds_load_2addr_b32 v[5:6], v118 offset1:96
	ds_load_2addr_b32 v[7:8], v110 offset0:64 offset1:160
	ds_load_2addr_b32 v[9:10], v85 offset0:128 offset1:224
	ds_load_2addr_b32 v[11:12], v107 offset0:128 offset1:224
	ds_load_2addr_b32 v[13:14], v191 offset0:64 offset1:160
	ds_load_2addr_b32 v[15:16], v135 offset1:96
	ds_load_2addr_b32 v[17:18], v98 offset0:64 offset1:160
	ds_load_2addr_b32 v[19:20], v129 offset0:128 offset1:224
	global_wb scope:SCOPE_SE
	s_wait_dscnt 0x0
	s_barrier_signal -1
	s_barrier_wait -1
	global_inv scope:SCOPE_SE
	ds_store_b32 v128, v33 offset:2880
	ds_store_2addr_b32 v128, v32, v35 offset1:96
	v_lshrrev_b32_e32 v32, 16, v1
	v_sub_f16_e32 v21, v1, v21
	v_sub_f16_e32 v23, v2, v23
	s_delay_alu instid0(VALU_DEP_3) | instskip(NEXT) | instid1(VALU_DEP_3)
	v_sub_f16_e32 v22, v32, v22
	v_fma_f16 v1, v1, 2.0, -v21
	s_delay_alu instid0(VALU_DEP_2)
	v_pack_b32_f16 v33, v21, v22
	v_fma_f16 v22, v32, 2.0, -v22
	v_lshrrev_b32_e32 v21, 16, v2
	v_fma_f16 v2, v2, 2.0, -v23
	ds_store_2addr_b32 v135, v31, v33 offset0:48 offset1:144
	v_pack_b32_f16 v1, v1, v22
	v_sub_f16_e32 v22, v21, v24
	s_delay_alu instid0(VALU_DEP_1) | instskip(NEXT) | instid1(VALU_DEP_1)
	v_fma_f16 v21, v21, 2.0, -v22
	v_pack_b32_f16 v2, v2, v21
	v_lshrrev_b32_e32 v21, 16, v11
	ds_store_2addr_b32 v137, v1, v2 offset0:64 offset1:160
	v_pack_b32_f16 v1, v23, v22
	v_sub_f16_e32 v2, v11, v25
	v_sub_f16_e32 v22, v21, v26
	s_delay_alu instid0(VALU_DEP_1)
	v_pack_b32_f16 v23, v2, v22
	v_fma_f16 v2, v11, 2.0, -v2
	v_lshrrev_b32_e32 v11, 16, v12
	ds_store_2addr_b32 v98, v1, v23 offset0:112 offset1:208
	v_fma_f16 v1, v21, 2.0, -v22
	v_sub_f16_e32 v21, v12, v27
	s_delay_alu instid0(VALU_DEP_2) | instskip(SKIP_1) | instid1(VALU_DEP_3)
	v_pack_b32_f16 v1, v2, v1
	v_sub_f16_e32 v2, v11, v28
	v_fma_f16 v12, v12, 2.0, -v21
	s_delay_alu instid0(VALU_DEP_2) | instskip(NEXT) | instid1(VALU_DEP_1)
	v_fma_f16 v11, v11, 2.0, -v2
	v_pack_b32_f16 v11, v12, v11
	v_sub_f16_e32 v12, v13, v29
	ds_store_2addr_b32 v107, v1, v11 offset0:128 offset1:224
	v_pack_b32_f16 v1, v21, v2
	v_lshrrev_b32_e32 v2, 16, v13
	v_fma_f16 v13, v13, 2.0, -v12
	s_delay_alu instid0(VALU_DEP_2) | instskip(NEXT) | instid1(VALU_DEP_1)
	v_sub_f16_e32 v11, v2, v30
	v_fma_f16 v2, v2, 2.0, -v11
	v_pack_b32_f16 v11, v12, v11
	v_lshrrev_b32_e32 v12, 16, v190
	s_delay_alu instid0(VALU_DEP_3) | instskip(SKIP_4) | instid1(VALU_DEP_2)
	v_pack_b32_f16 v2, v13, v2
	ds_store_b32 v128, v2 offset:2304
	ds_store_2addr_b32 v36, v1, v11 offset0:48 offset1:144
	v_lshrrev_b32_e32 v11, 16, v198
	v_lshrrev_b32_e32 v1, 16, v3
	v_mul_f16_e32 v2, v11, v3
	s_delay_alu instid0(VALU_DEP_2) | instskip(NEXT) | instid1(VALU_DEP_2)
	v_mul_f16_e32 v11, v11, v1
	v_fma_f16 v1, v198, v1, -v2
	v_lshrrev_b32_e32 v2, 16, v4
	s_delay_alu instid0(VALU_DEP_3) | instskip(NEXT) | instid1(VALU_DEP_2)
	v_fmac_f16_e64 v11, v198, v3
	v_mul_f16_e32 v3, v12, v2
	v_mul_f16_e32 v12, v12, v4
	s_delay_alu instid0(VALU_DEP_2) | instskip(NEXT) | instid1(VALU_DEP_4)
	v_fmac_f16_e64 v3, v190, v4
	v_sub_f16_e32 v4, v14, v11
	v_lshrrev_b32_e32 v11, 16, v14
	s_delay_alu instid0(VALU_DEP_4) | instskip(NEXT) | instid1(VALU_DEP_4)
	v_fma_f16 v2, v190, v2, -v12
	v_sub_f16_e32 v3, v15, v3
	s_delay_alu instid0(VALU_DEP_4) | instskip(NEXT) | instid1(VALU_DEP_4)
	v_fma_f16 v12, v14, 2.0, -v4
	v_sub_f16_e32 v1, v11, v1
	v_mul_f16_e64 v14, v220, v8
	s_delay_alu instid0(VALU_DEP_2)
	v_fma_f16 v11, v11, 2.0, -v1
	v_pack_b32_f16 v1, v4, v1
	scratch_load_b32 v4, off, off offset:280 th:TH_LOAD_LU ; 4-byte Folded Reload
	v_pack_b32_f16 v11, v12, v11
	s_wait_loadcnt 0x0
	ds_store_b32 v4, v11
	ds_store_b32 v4, v1 offset:2880
	v_lshrrev_b32_e32 v1, 16, v5
	v_mul_f16_e64 v4, v197, v5
	v_fma_f16 v12, v15, 2.0, -v3
	s_delay_alu instid0(VALU_DEP_3) | instskip(NEXT) | instid1(VALU_DEP_3)
	v_mul_f16_e64 v11, v197, v1
	v_fma_f16 v1, v185, v1, -v4
	s_delay_alu instid0(VALU_DEP_2) | instskip(SKIP_1) | instid1(VALU_DEP_2)
	v_fmac_f16_e64 v11, v185, v5
	v_lshrrev_b32_e32 v5, 16, v15
	v_sub_f16_e32 v4, v16, v11
	v_lshrrev_b32_e32 v11, 16, v16
	s_delay_alu instid0(VALU_DEP_3) | instskip(NEXT) | instid1(VALU_DEP_3)
	v_sub_f16_e32 v2, v5, v2
	v_fma_f16 v13, v16, 2.0, -v4
	s_delay_alu instid0(VALU_DEP_3) | instskip(NEXT) | instid1(VALU_DEP_3)
	v_sub_f16_e32 v1, v11, v1
	v_fma_f16 v5, v5, 2.0, -v2
	v_mul_f16_e64 v16, v229, v10
	v_pack_b32_f16 v2, v3, v2
	s_delay_alu instid0(VALU_DEP_4) | instskip(NEXT) | instid1(VALU_DEP_4)
	v_fma_f16 v11, v11, 2.0, -v1
	v_pack_b32_f16 v5, v12, v5
	v_add_nc_u32_e32 v12, 0x1600, v128
	v_pack_b32_f16 v1, v4, v1
	s_delay_alu instid0(VALU_DEP_4) | instskip(SKIP_3) | instid1(VALU_DEP_2)
	v_pack_b32_f16 v11, v13, v11
	ds_store_2addr_b32 v12, v5, v11 offset0:80 offset1:176
	v_lshrrev_b32_e32 v5, 16, v6
	v_mul_f16_e64 v12, v205, v6
	v_mul_f16_e64 v11, v205, v5
	s_delay_alu instid0(VALU_DEP_2) | instskip(SKIP_1) | instid1(VALU_DEP_3)
	v_fma_f16 v5, v183, v5, -v12
	v_mul_f16_e64 v12, v215, v7
	v_fmac_f16_e64 v11, v183, v6
	v_lshrrev_b32_e32 v6, 16, v7
	s_delay_alu instid0(VALU_DEP_2) | instskip(NEXT) | instid1(VALU_DEP_2)
	v_sub_f16_e32 v4, v17, v11
	v_mul_f16_e64 v13, v215, v6
	v_fma_f16 v6, v182, v6, -v12
	s_delay_alu instid0(VALU_DEP_2) | instskip(SKIP_1) | instid1(VALU_DEP_1)
	v_fmac_f16_e64 v13, v182, v7
	v_lshrrev_b32_e32 v7, 16, v8
	v_mul_f16_e64 v12, v220, v7
	v_fma_f16 v7, v188, v7, -v14
	v_mul_f16_e64 v14, v224, v9
	s_delay_alu instid0(VALU_DEP_3) | instskip(SKIP_1) | instid1(VALU_DEP_1)
	v_fmac_f16_e64 v12, v188, v8
	v_lshrrev_b32_e32 v8, 16, v9
	v_mul_f16_e64 v15, v224, v8
	s_delay_alu instid0(VALU_DEP_4) | instskip(NEXT) | instid1(VALU_DEP_2)
	v_fma_f16 v8, v186, v8, -v14
	v_fmac_f16_e64 v15, v186, v9
	v_lshrrev_b32_e32 v9, 16, v10
	s_delay_alu instid0(VALU_DEP_1) | instskip(SKIP_1) | instid1(VALU_DEP_2)
	v_mul_f16_e64 v14, v229, v9
	v_fma_f16 v9, v184, v9, -v16
	v_fmac_f16_e64 v14, v184, v10
	v_lshrrev_b32_e32 v10, 16, v17
	s_delay_alu instid0(VALU_DEP_1) | instskip(NEXT) | instid1(VALU_DEP_1)
	v_sub_f16_e32 v5, v10, v5
	v_pack_b32_f16 v11, v4, v5
	v_fma_f16 v4, v17, 2.0, -v4
	ds_store_2addr_b32 v118, v1, v11 offset1:96
	v_fma_f16 v1, v10, 2.0, -v5
	v_lshrrev_b32_e32 v10, 16, v18
	v_sub_f16_e32 v5, v18, v13
	s_delay_alu instid0(VALU_DEP_3) | instskip(NEXT) | instid1(VALU_DEP_3)
	v_pack_b32_f16 v1, v4, v1
	v_sub_f16_e32 v4, v10, v6
	s_delay_alu instid0(VALU_DEP_3) | instskip(NEXT) | instid1(VALU_DEP_2)
	v_fma_f16 v11, v18, 2.0, -v5
	v_fma_f16 v6, v10, 2.0, -v4
	s_delay_alu instid0(VALU_DEP_1) | instskip(SKIP_4) | instid1(VALU_DEP_2)
	v_pack_b32_f16 v6, v11, v6
	ds_store_2addr_b32 v95, v1, v6 offset0:144 offset1:240
	v_pack_b32_f16 v1, v5, v4
	v_lshrrev_b32_e32 v5, 16, v19
	v_sub_f16_e32 v4, v19, v12
	v_sub_f16_e32 v6, v5, v7
	s_delay_alu instid0(VALU_DEP_1)
	v_pack_b32_f16 v7, v4, v6
	v_fma_f16 v4, v19, 2.0, -v4
	ds_store_2addr_b32 v110, v1, v7 offset0:64 offset1:160
	v_fma_f16 v1, v5, 2.0, -v6
	v_lshrrev_b32_e32 v6, 16, v20
	v_sub_f16_e32 v5, v20, v15
	s_delay_alu instid0(VALU_DEP_3) | instskip(NEXT) | instid1(VALU_DEP_3)
	v_pack_b32_f16 v1, v4, v1
	v_sub_f16_e32 v4, v6, v8
	s_delay_alu instid0(VALU_DEP_3) | instskip(NEXT) | instid1(VALU_DEP_2)
	v_fma_f16 v7, v20, 2.0, -v5
	v_fma_f16 v6, v6, 2.0, -v4
	s_delay_alu instid0(VALU_DEP_1) | instskip(SKIP_3) | instid1(VALU_DEP_2)
	v_pack_b32_f16 v6, v7, v6
	ds_store_2addr_b32 v119, v1, v6 offset0:80 offset1:176
	v_lshrrev_b32_e32 v6, 16, v0
	v_sub_f16_e32 v1, v0, v14
	v_sub_f16_e32 v3, v6, v9
	s_delay_alu instid0(VALU_DEP_2) | instskip(NEXT) | instid1(VALU_DEP_2)
	v_fma_f16 v0, v0, 2.0, -v1
	v_fma_f16 v6, v6, 2.0, -v3
	v_pack_b32_f16 v1, v1, v3
	s_delay_alu instid0(VALU_DEP_2)
	v_pack_b32_f16 v0, v0, v6
	ds_store_2addr_b32 v87, v0, v2 offset0:16 offset1:160
	v_pack_b32_f16 v0, v5, v4
	ds_store_2addr_b32 v85, v0, v1 offset0:128 offset1:224
	global_wb scope:SCOPE_SE
	s_wait_dscnt 0x0
	s_barrier_signal -1
	s_barrier_wait -1
	global_inv scope:SCOPE_SE
	ds_load_2addr_b32 v[0:1], v95 offset1:96
	s_wait_dscnt 0x0
	v_lshrrev_b32_e32 v2, 16, v0
	v_mul_f16_e64 v3, v145, v0
	s_delay_alu instid0(VALU_DEP_2) | instskip(NEXT) | instid1(VALU_DEP_2)
	v_mul_f16_e64 v4, v145, v2
	v_fma_f16 v3, v218, v2, -v3
	v_mul_f16_e32 v2, v92, v1
	s_delay_alu instid0(VALU_DEP_3) | instskip(SKIP_1) | instid1(VALU_DEP_1)
	v_fmac_f16_e64 v4, v218, v0
	v_lshrrev_b32_e32 v0, 16, v1
	v_mul_f16_e32 v13, v92, v0
	s_delay_alu instid0(VALU_DEP_4) | instskip(NEXT) | instid1(VALU_DEP_2)
	v_fma_f16 v14, v250, v0, -v2
	v_fmac_f16_e64 v13, v250, v1
	ds_load_2addr_b32 v[0:1], v121 offset0:64 offset1:160
	s_wait_dscnt 0x0
	v_lshrrev_b32_e32 v2, 16, v0
	v_mul_f16_e32 v5, v93, v0
	s_delay_alu instid0(VALU_DEP_2) | instskip(NEXT) | instid1(VALU_DEP_2)
	v_mul_f16_e32 v15, v93, v2
	v_fma_f16 v16, v253, v2, -v5
	v_mul_f16_e64 v2, v154, v1
	s_delay_alu instid0(VALU_DEP_3) | instskip(SKIP_1) | instid1(VALU_DEP_1)
	v_fmac_f16_e64 v15, v253, v0
	v_lshrrev_b32_e32 v0, 16, v1
	v_mul_f16_e64 v17, v154, v0
	s_delay_alu instid0(VALU_DEP_4) | instskip(NEXT) | instid1(VALU_DEP_2)
	v_fma_f16 v18, v58, v0, -v2
	v_fmac_f16_e32 v17, v58, v1
	ds_load_2addr_b32 v[0:1], v119 offset0:128 offset1:224
	s_wait_dscnt 0x0
	v_lshrrev_b32_e32 v2, 16, v0
	v_mul_f16_e64 v5, v153, v0
	s_delay_alu instid0(VALU_DEP_2) | instskip(NEXT) | instid1(VALU_DEP_2)
	v_mul_f16_e64 v19, v153, v2
	v_fma_f16 v20, v174, v2, -v5
	v_mul_f16_e64 v2, v157, v1
	s_delay_alu instid0(VALU_DEP_3) | instskip(SKIP_1) | instid1(VALU_DEP_1)
	v_fmac_f16_e64 v19, v174, v0
	v_lshrrev_b32_e32 v0, 16, v1
	v_mul_f16_e64 v21, v157, v0
	s_delay_alu instid0(VALU_DEP_4) | instskip(NEXT) | instid1(VALU_DEP_2)
	v_fma_f16 v22, v99, v0, -v2
	v_fmac_f16_e32 v21, v99, v1
	ds_load_2addr_b32 v[0:1], v87 offset0:64 offset1:160
	s_wait_dscnt 0x0
	v_lshrrev_b32_e32 v2, 16, v0
	v_mul_f16_e32 v5, v96, v0
	s_delay_alu instid0(VALU_DEP_2) | instskip(NEXT) | instid1(VALU_DEP_2)
	v_mul_f16_e32 v23, v96, v2
	v_fma_f16 v24, v178, v2, -v5
	v_mul_f16_e32 v2, v108, v1
	s_delay_alu instid0(VALU_DEP_3) | instskip(SKIP_1) | instid1(VALU_DEP_1)
	v_fmac_f16_e64 v23, v178, v0
	v_lshrrev_b32_e32 v0, 16, v1
	v_mul_f16_e32 v25, v108, v0
	s_delay_alu instid0(VALU_DEP_4) | instskip(NEXT) | instid1(VALU_DEP_2)
	v_fma_f16 v26, v155, v0, -v2
	v_fmac_f16_e64 v25, v155, v1
	ds_load_2addr_b32 v[0:1], v118 offset1:96
	s_wait_dscnt 0x0
	v_lshrrev_b32_e32 v2, 16, v0
	v_mul_f16_e32 v5, v111, v0
	s_delay_alu instid0(VALU_DEP_2) | instskip(NEXT) | instid1(VALU_DEP_2)
	v_mul_f16_e32 v27, v111, v2
	v_fma_f16 v28, v158, v2, -v5
	v_mul_f16_e32 v2, v112, v1
	s_delay_alu instid0(VALU_DEP_3) | instskip(SKIP_1) | instid1(VALU_DEP_1)
	v_fmac_f16_e64 v27, v158, v0
	v_lshrrev_b32_e32 v0, 16, v1
	v_mul_f16_e32 v29, v112, v0
	s_delay_alu instid0(VALU_DEP_4) | instskip(NEXT) | instid1(VALU_DEP_2)
	v_fma_f16 v30, v159, v0, -v2
	v_fmac_f16_e64 v29, v159, v1
	ds_load_2addr_b32 v[0:1], v110 offset0:64 offset1:160
	s_wait_dscnt 0x0
	v_lshrrev_b32_e32 v2, 16, v0
	v_mul_f16_e32 v5, v113, v0
	s_delay_alu instid0(VALU_DEP_2) | instskip(NEXT) | instid1(VALU_DEP_2)
	v_mul_f16_e32 v31, v113, v2
	v_fma_f16 v32, v160, v2, -v5
	v_mul_f16_e32 v2, v115, v1
	s_delay_alu instid0(VALU_DEP_3) | instskip(SKIP_1) | instid1(VALU_DEP_1)
	v_fmac_f16_e64 v31, v160, v0
	v_lshrrev_b32_e32 v0, 16, v1
	v_mul_f16_e32 v33, v115, v0
	s_delay_alu instid0(VALU_DEP_4) | instskip(NEXT) | instid1(VALU_DEP_2)
	v_fma_f16 v34, v100, v0, -v2
	v_fmac_f16_e32 v33, v100, v1
	ds_load_2addr_b32 v[0:1], v85 offset0:128 offset1:224
	s_wait_dscnt 0x0
	v_lshrrev_b32_e32 v2, 16, v0
	v_mul_f16_e32 v5, v114, v0
	s_delay_alu instid0(VALU_DEP_2) | instskip(NEXT) | instid1(VALU_DEP_2)
	v_mul_f16_e32 v35, v114, v2
	v_fma_f16 v36, v101, v2, -v5
	v_mul_f16_e32 v2, v116, v1
	s_delay_alu instid0(VALU_DEP_3) | instskip(SKIP_1) | instid1(VALU_DEP_1)
	v_fmac_f16_e32 v35, v101, v0
	v_lshrrev_b32_e32 v0, 16, v1
	v_mul_f16_e32 v37, v116, v0
	s_delay_alu instid0(VALU_DEP_4) | instskip(NEXT) | instid1(VALU_DEP_2)
	v_fma_f16 v38, v102, v0, -v2
	v_fmac_f16_e32 v37, v102, v1
	ds_load_2addr_b32 v[0:1], v127 offset0:64 offset1:160
	s_wait_dscnt 0x0
	v_lshrrev_b32_e32 v2, 16, v1
	v_mul_f16_e64 v5, v151, v1
	s_delay_alu instid0(VALU_DEP_2) | instskip(NEXT) | instid1(VALU_DEP_2)
	v_mul_f16_e64 v6, v151, v2
	v_fma_f16 v5, v181, v2, -v5
	s_delay_alu instid0(VALU_DEP_2)
	v_fmac_f16_e64 v6, v181, v1
	ds_load_2addr_b32 v[1:2], v128 offset1:96
	s_wait_dscnt 0x0
	v_sub_f16_e32 v39, v2, v4
	v_lshrrev_b32_e32 v4, 16, v1
	v_sub_f16_e32 v6, v1, v6
	v_lshrrev_b32_e32 v7, 16, v2
	s_delay_alu instid0(VALU_DEP_4) | instskip(NEXT) | instid1(VALU_DEP_4)
	v_fma_f16 v2, v2, 2.0, -v39
	v_sub_f16_e32 v5, v4, v5
	s_delay_alu instid0(VALU_DEP_4) | instskip(NEXT) | instid1(VALU_DEP_4)
	v_fma_f16 v1, v1, 2.0, -v6
	v_sub_f16_e32 v41, v7, v3
	s_delay_alu instid0(VALU_DEP_3) | instskip(NEXT) | instid1(VALU_DEP_2)
	v_fma_f16 v4, v4, 2.0, -v5
	v_fma_f16 v3, v7, 2.0, -v41
	v_pack_b32_f16 v39, v39, v41
	s_delay_alu instid0(VALU_DEP_3) | instskip(SKIP_1) | instid1(VALU_DEP_4)
	v_pack_b32_f16 v40, v1, v4
	v_pack_b32_f16 v1, v6, v5
	v_pack_b32_f16 v42, v2, v3
	ds_store_b32 v128, v1 offset:5760
	ds_load_2addr_b32 v[1:2], v137 offset0:64 offset1:160
	ds_load_2addr_b32 v[3:4], v107 offset0:128 offset1:224
	;; [unrolled: 1-line block ×3, first 2 shown]
	ds_load_2addr_b32 v[7:8], v135 offset1:96
	ds_load_2addr_b32 v[9:10], v98 offset0:64 offset1:160
	ds_load_2addr_b32 v[11:12], v129 offset0:128 offset1:224
	ds_store_2addr_b32 v128, v40, v42 offset1:96
	s_wait_dscnt 0x6
	v_lshrrev_b32_e32 v40, 16, v1
	v_sub_f16_e32 v13, v1, v13
	v_sub_f16_e32 v15, v2, v15
	s_delay_alu instid0(VALU_DEP_3) | instskip(NEXT) | instid1(VALU_DEP_3)
	v_sub_f16_e32 v14, v40, v14
	v_fma_f16 v1, v1, 2.0, -v13
	s_delay_alu instid0(VALU_DEP_2)
	v_pack_b32_f16 v41, v13, v14
	v_fma_f16 v14, v40, 2.0, -v14
	v_lshrrev_b32_e32 v13, 16, v2
	v_fma_f16 v2, v2, 2.0, -v15
	ds_store_2addr_b32 v95, v39, v41 offset1:96
	v_pack_b32_f16 v1, v1, v14
	v_sub_f16_e32 v14, v13, v16
	s_delay_alu instid0(VALU_DEP_1) | instskip(NEXT) | instid1(VALU_DEP_1)
	v_fma_f16 v13, v13, 2.0, -v14
	v_pack_b32_f16 v2, v2, v13
	s_wait_dscnt 0x6
	v_lshrrev_b32_e32 v13, 16, v3
	ds_store_2addr_b32 v137, v1, v2 offset0:64 offset1:160
	v_pack_b32_f16 v1, v15, v14
	v_sub_f16_e32 v2, v3, v17
	v_sub_f16_e32 v14, v13, v18
	s_delay_alu instid0(VALU_DEP_1)
	v_pack_b32_f16 v15, v2, v14
	v_fma_f16 v2, v3, 2.0, -v2
	v_lshrrev_b32_e32 v3, 16, v4
	ds_store_2addr_b32 v121, v1, v15 offset0:64 offset1:160
	v_fma_f16 v1, v13, 2.0, -v14
	v_sub_f16_e32 v13, v4, v19
	s_delay_alu instid0(VALU_DEP_2) | instskip(SKIP_1) | instid1(VALU_DEP_3)
	v_pack_b32_f16 v1, v2, v1
	v_sub_f16_e32 v2, v3, v20
	v_fma_f16 v4, v4, 2.0, -v13
	s_delay_alu instid0(VALU_DEP_2) | instskip(NEXT) | instid1(VALU_DEP_1)
	v_fma_f16 v3, v3, 2.0, -v2
	v_pack_b32_f16 v3, v4, v3
	ds_store_2addr_b32 v107, v1, v3 offset0:128 offset1:224
	s_wait_dscnt 0x8
	v_lshrrev_b32_e32 v3, 16, v5
	v_pack_b32_f16 v1, v13, v2
	v_sub_f16_e32 v2, v5, v21
	s_delay_alu instid0(VALU_DEP_3) | instskip(SKIP_1) | instid1(VALU_DEP_2)
	v_sub_f16_e32 v4, v3, v22
	v_lshrrev_b32_e32 v22, 16, v213
	v_pack_b32_f16 v13, v2, v4
	v_fma_f16 v2, v5, 2.0, -v2
	ds_store_2addr_b32 v119, v1, v13 offset0:128 offset1:224
	v_fma_f16 v1, v3, 2.0, -v4
	v_lshrrev_b32_e32 v4, 16, v6
	v_sub_f16_e32 v3, v6, v23
	s_delay_alu instid0(VALU_DEP_3) | instskip(NEXT) | instid1(VALU_DEP_3)
	v_pack_b32_f16 v1, v2, v1
	v_sub_f16_e32 v2, v4, v24
	s_delay_alu instid0(VALU_DEP_3) | instskip(NEXT) | instid1(VALU_DEP_2)
	v_fma_f16 v5, v6, 2.0, -v3
	v_fma_f16 v4, v4, 2.0, -v2
	s_delay_alu instid0(VALU_DEP_1)
	v_pack_b32_f16 v4, v5, v4
	ds_store_2addr_b32 v191, v1, v4 offset0:64 offset1:160
	v_pack_b32_f16 v1, v3, v2
	s_wait_dscnt 0x9
	v_lshrrev_b32_e32 v3, 16, v7
	v_sub_f16_e32 v2, v7, v25
	s_delay_alu instid0(VALU_DEP_2) | instskip(NEXT) | instid1(VALU_DEP_1)
	v_sub_f16_e32 v4, v3, v26
	v_pack_b32_f16 v5, v2, v4
	v_fma_f16 v2, v7, 2.0, -v2
	ds_store_2addr_b32 v87, v1, v5 offset0:64 offset1:160
	v_fma_f16 v1, v3, 2.0, -v4
	v_lshrrev_b32_e32 v4, 16, v8
	v_sub_f16_e32 v3, v8, v27
	s_delay_alu instid0(VALU_DEP_3) | instskip(NEXT) | instid1(VALU_DEP_3)
	v_pack_b32_f16 v1, v2, v1
	v_sub_f16_e32 v2, v4, v28
	s_delay_alu instid0(VALU_DEP_3) | instskip(NEXT) | instid1(VALU_DEP_2)
	v_fma_f16 v5, v8, 2.0, -v3
	v_fma_f16 v4, v4, 2.0, -v2
	s_delay_alu instid0(VALU_DEP_1)
	v_pack_b32_f16 v4, v5, v4
	ds_store_2addr_b32 v135, v1, v4 offset1:96
	v_pack_b32_f16 v1, v3, v2
	s_wait_dscnt 0xa
	v_lshrrev_b32_e32 v3, 16, v9
	v_sub_f16_e32 v2, v9, v29
	s_delay_alu instid0(VALU_DEP_2) | instskip(NEXT) | instid1(VALU_DEP_1)
	v_sub_f16_e32 v4, v3, v30
	v_pack_b32_f16 v5, v2, v4
	v_fma_f16 v2, v9, 2.0, -v2
	ds_store_2addr_b32 v118, v1, v5 offset1:96
	v_fma_f16 v1, v3, 2.0, -v4
	v_lshrrev_b32_e32 v4, 16, v10
	v_sub_f16_e32 v3, v10, v31
	s_delay_alu instid0(VALU_DEP_3) | instskip(NEXT) | instid1(VALU_DEP_3)
	v_pack_b32_f16 v1, v2, v1
	v_sub_f16_e32 v2, v4, v32
	s_delay_alu instid0(VALU_DEP_3) | instskip(SKIP_1) | instid1(VALU_DEP_3)
	v_fma_f16 v5, v10, 2.0, -v3
	v_mad_co_u64_u32 v[9:10], null, s8, v123, 0
	v_fma_f16 v4, v4, 2.0, -v2
	s_delay_alu instid0(VALU_DEP_1)
	v_pack_b32_f16 v4, v5, v4
	ds_store_2addr_b32 v98, v1, v4 offset0:64 offset1:160
	v_pack_b32_f16 v1, v3, v2
	s_wait_dscnt 0xb
	v_lshrrev_b32_e32 v3, 16, v11
	v_sub_f16_e32 v2, v11, v33
	s_delay_alu instid0(VALU_DEP_2) | instskip(NEXT) | instid1(VALU_DEP_1)
	v_sub_f16_e32 v4, v3, v34
	v_pack_b32_f16 v5, v2, v4
	v_fma_f16 v2, v11, 2.0, -v2
	ds_store_2addr_b32 v110, v1, v5 offset0:64 offset1:160
	v_fma_f16 v1, v3, 2.0, -v4
	v_lshrrev_b32_e32 v4, 16, v12
	v_sub_f16_e32 v3, v12, v35
	s_delay_alu instid0(VALU_DEP_3) | instskip(NEXT) | instid1(VALU_DEP_3)
	v_pack_b32_f16 v1, v2, v1
	v_sub_f16_e32 v2, v4, v36
	s_delay_alu instid0(VALU_DEP_3) | instskip(NEXT) | instid1(VALU_DEP_2)
	v_fma_f16 v5, v12, 2.0, -v3
	v_fma_f16 v4, v4, 2.0, -v2
	s_delay_alu instid0(VALU_DEP_1) | instskip(SKIP_3) | instid1(VALU_DEP_2)
	v_pack_b32_f16 v4, v5, v4
	ds_store_2addr_b32 v129, v1, v4 offset0:128 offset1:224
	v_sub_f16_e32 v1, v0, v37
	v_lshrrev_b32_e32 v4, 16, v0
	v_fma_f16 v5, v0, 2.0, -v1
	v_pack_b32_f16 v0, v3, v2
	s_delay_alu instid0(VALU_DEP_3) | instskip(NEXT) | instid1(VALU_DEP_1)
	v_sub_f16_e32 v2, v4, v38
	v_pack_b32_f16 v1, v1, v2
	ds_store_2addr_b32 v85, v0, v1 offset0:128 offset1:224
	scratch_load_b64 v[0:1], off, off offset:216 th:TH_LOAD_LU ; 8-byte Folded Reload
	s_wait_loadcnt 0x0
	v_mov_b32_e32 v1, v0
	s_delay_alu instid0(VALU_DEP_1) | instskip(NEXT) | instid1(VALU_DEP_1)
	v_mad_co_u64_u32 v[6:7], null, s10, v1, 0
	v_mov_b32_e32 v0, v7
	s_delay_alu instid0(VALU_DEP_1) | instskip(SKIP_3) | instid1(VALU_DEP_1)
	v_mad_co_u64_u32 v[0:1], null, s11, v1, v[0:1]
	v_fma_f16 v1, v4, 2.0, -v2
	s_mov_b32 s10, 0x16c16c17
	s_mov_b32 s11, 0x3f36c16c
	v_pack_b32_f16 v1, v5, v1
	ds_store_b32 v128, v1 offset:5376
	global_wb scope:SCOPE_SE
	s_wait_dscnt 0x0
	s_barrier_signal -1
	s_barrier_wait -1
	global_inv scope:SCOPE_SE
	s_clause 0x5
	scratch_load_b32 v24, off, off offset:248 th:TH_LOAD_LU
	scratch_load_b32 v23, off, off offset:244 th:TH_LOAD_LU
	scratch_load_b32 v34, off, off offset:236 th:TH_LOAD_LU
	scratch_load_b32 v33, off, off offset:232 th:TH_LOAD_LU
	scratch_load_b32 v36, off, off offset:228 th:TH_LOAD_LU
	scratch_load_b32 v35, off, off offset:224 th:TH_LOAD_LU
	ds_load_2addr_b32 v[4:5], v128 offset1:96
	s_wait_dscnt 0x0
	v_lshrrev_b32_e32 v11, 16, v4
	s_wait_loadcnt 0x5
	v_mul_f16_e32 v1, v24, v4
	s_wait_loadcnt 0x4
	s_delay_alu instid0(VALU_DEP_1) | instskip(NEXT) | instid1(VALU_DEP_1)
	v_fma_f16 v1, v23, v11, -v1
	v_cvt_f32_f16_e32 v1, v1
	s_delay_alu instid0(VALU_DEP_1) | instskip(SKIP_1) | instid1(VALU_DEP_1)
	v_cvt_f64_f32_e32 v[1:2], v1
	s_wait_alu 0xfffe
	v_mul_f64_e32 v[7:8], s[10:11], v[1:2]
	s_delay_alu instid0(VALU_DEP_1) | instskip(SKIP_3) | instid1(VALU_DEP_4)
	v_and_or_b32 v1, 0x1ff, v8, v7
	v_lshrrev_b32_e32 v2, 8, v8
	v_bfe_u32 v13, v8, 20, 11
	v_dual_mov_b32 v7, v0 :: v_dual_mov_b32 v0, v10
	v_cmp_ne_u32_e32 vcc_lo, 0, v1
	v_lshrrev_b32_e32 v8, 16, v8
	s_delay_alu instid0(VALU_DEP_3) | instskip(SKIP_2) | instid1(VALU_DEP_2)
	v_lshlrev_b64_e32 v[6:7], 2, v[6:7]
	s_wait_alu 0xfffd
	v_cndmask_b32_e64 v1, 0, 1, vcc_lo
	v_add_co_u32 v21, s0, s0, v6
	s_delay_alu instid0(VALU_DEP_2) | instskip(SKIP_3) | instid1(VALU_DEP_3)
	v_and_or_b32 v12, 0xffe, v2, v1
	v_sub_nc_u32_e32 v1, 0x3f1, v13
	s_wait_alu 0xf1ff
	v_add_co_ci_u32_e64 v20, s0, s1, v7, s0
	v_or_b32_e32 v2, 0x1000, v12
	s_delay_alu instid0(VALU_DEP_3) | instskip(NEXT) | instid1(VALU_DEP_1)
	v_med3_i32 v1, v1, 0, 13
	v_lshrrev_b32_e32 v14, v1, v2
	s_delay_alu instid0(VALU_DEP_1) | instskip(NEXT) | instid1(VALU_DEP_1)
	v_lshlrev_b32_e32 v1, v1, v14
	v_cmp_ne_u32_e32 vcc_lo, v1, v2
	v_mad_co_u64_u32 v[0:1], null, s9, v123, v[0:1]
	s_delay_alu instid0(VALU_DEP_1) | instskip(SKIP_2) | instid1(VALU_DEP_1)
	v_mov_b32_e32 v10, v0
	ds_load_2addr_b32 v[0:1], v137 offset0:64 offset1:160
	v_lshlrev_b64_e32 v[6:7], 2, v[9:10]
	v_add_co_u32 v6, s0, v21, v6
	s_wait_alu 0xf1ff
	s_delay_alu instid0(VALU_DEP_2) | instskip(SKIP_3) | instid1(VALU_DEP_1)
	v_add_co_ci_u32_e64 v7, s0, v20, v7, s0
	s_wait_dscnt 0x0
	v_lshrrev_b32_e32 v15, 16, v1
	v_mul_f16_e32 v2, v22, v1
	v_fma_f16 v2, v213, v15, -v2
	s_delay_alu instid0(VALU_DEP_1) | instskip(NEXT) | instid1(VALU_DEP_1)
	v_cvt_f32_f16_e32 v2, v2
	v_cvt_f64_f32_e32 v[2:3], v2
	s_delay_alu instid0(VALU_DEP_1) | instskip(NEXT) | instid1(VALU_DEP_1)
	v_mul_f64_e32 v[2:3], s[10:11], v[2:3]
	v_and_or_b32 v2, 0x1ff, v3, v2
	v_lshrrev_b32_e32 v16, 8, v3
	v_bfe_u32 v17, v3, 20, 11
	v_lshrrev_b32_e32 v3, 16, v3
	s_delay_alu instid0(VALU_DEP_4) | instskip(SKIP_1) | instid1(VALU_DEP_1)
	v_cmp_ne_u32_e64 s2, 0, v2
	s_wait_alu 0xf1ff
	v_cndmask_b32_e64 v2, 0, 1, s2
	s_delay_alu instid0(VALU_DEP_1) | instskip(SKIP_1) | instid1(VALU_DEP_2)
	v_and_or_b32 v16, 0xffe, v16, v2
	v_sub_nc_u32_e32 v2, 0x3f1, v17
	v_or_b32_e32 v18, 0x1000, v16
	s_delay_alu instid0(VALU_DEP_2) | instskip(NEXT) | instid1(VALU_DEP_1)
	v_med3_i32 v2, v2, 0, 13
	v_lshrrev_b32_e32 v19, v2, v18
	s_delay_alu instid0(VALU_DEP_1) | instskip(NEXT) | instid1(VALU_DEP_1)
	v_lshlrev_b32_e32 v2, v2, v19
	v_cmp_ne_u32_e64 s2, v2, v18
	v_mul_f16_e32 v2, v24, v11
	scratch_load_b32 v24, off, off offset:256 th:TH_LOAD_LU ; 4-byte Folded Reload
	v_fmac_f16_e32 v2, v23, v4
	s_delay_alu instid0(VALU_DEP_1) | instskip(NEXT) | instid1(VALU_DEP_1)
	v_cvt_f32_f16_e32 v2, v2
	v_cvt_f64_f32_e32 v[9:10], v2
	s_delay_alu instid0(VALU_DEP_1) | instskip(NEXT) | instid1(VALU_DEP_1)
	v_mul_f64_e32 v[9:10], s[10:11], v[9:10]
	v_and_or_b32 v2, 0x1ff, v10, v9
	v_lshrrev_b32_e32 v4, 8, v10
	s_delay_alu instid0(VALU_DEP_2) | instskip(SKIP_1) | instid1(VALU_DEP_1)
	v_cmp_ne_u32_e64 s0, 0, v2
	s_wait_alu 0xf1ff
	v_cndmask_b32_e64 v2, 0, 1, s0
	s_delay_alu instid0(VALU_DEP_1) | instskip(SKIP_1) | instid1(VALU_DEP_2)
	v_and_or_b32 v2, 0xffe, v4, v2
	v_bfe_u32 v4, v10, 20, 11
	v_or_b32_e32 v11, 0x1000, v2
	s_delay_alu instid0(VALU_DEP_2) | instskip(SKIP_1) | instid1(VALU_DEP_2)
	v_sub_nc_u32_e32 v9, 0x3f1, v4
	v_add_nc_u32_e32 v4, 0xfffffc10, v4
	v_med3_i32 v9, v9, 0, 13
	s_delay_alu instid0(VALU_DEP_1) | instskip(NEXT) | instid1(VALU_DEP_1)
	v_lshrrev_b32_e32 v18, v9, v11
	v_lshlrev_b32_e32 v9, v9, v18
	s_delay_alu instid0(VALU_DEP_1) | instskip(SKIP_2) | instid1(VALU_DEP_2)
	v_cmp_ne_u32_e64 s0, v9, v11
	v_lshl_or_b32 v11, v4, 12, v2
	s_wait_alu 0xf1ff
	v_cndmask_b32_e64 v9, 0, 1, s0
	v_cmp_gt_i32_e64 s0, 1, v4
	s_delay_alu instid0(VALU_DEP_2) | instskip(SKIP_1) | instid1(VALU_DEP_1)
	v_or_b32_e32 v9, v18, v9
	s_wait_alu 0xf1ff
	v_cndmask_b32_e64 v9, v11, v9, s0
	s_delay_alu instid0(VALU_DEP_1) | instskip(SKIP_1) | instid1(VALU_DEP_2)
	v_and_b32_e32 v11, 7, v9
	v_lshrrev_b32_e32 v9, 2, v9
	v_cmp_lt_i32_e64 s0, 5, v11
	v_cmp_eq_u32_e64 s1, 3, v11
	s_wait_alu 0xfffd
	v_cndmask_b32_e64 v11, 0, 1, vcc_lo
	v_cmp_ne_u32_e32 vcc_lo, 0, v2
	v_add_nc_u32_e32 v2, 0xfffffc10, v13
	s_or_b32 s0, s1, s0
	s_delay_alu instid0(VALU_DEP_3)
	v_or_b32_e32 v11, v14, v11
	s_wait_alu 0xfffe
	v_add_co_ci_u32_e64 v9, s0, 0, v9, s0
	v_lshl_or_b32 v13, v2, 12, v12
	v_cmp_gt_i32_e64 s3, 1, v2
	v_cmp_gt_i32_e64 s0, 31, v4
	v_cmp_ne_u32_e64 s1, 0, v12
	s_wait_alu 0xf1ff
	s_delay_alu instid0(VALU_DEP_3) | instskip(SKIP_4) | instid1(VALU_DEP_3)
	v_cndmask_b32_e64 v11, v13, v11, s3
	s_wait_alu 0xfffd
	v_cndmask_b32_e64 v13, 0, 1, vcc_lo
	v_cndmask_b32_e64 v9, 0x7c00, v9, s0
	v_cmp_eq_u32_e32 vcc_lo, 0x40f, v4
	v_lshl_or_b32 v13, v13, 9, 0x7c00
	s_wait_alu 0xfffd
	s_delay_alu instid0(VALU_DEP_1) | instskip(SKIP_2) | instid1(VALU_DEP_2)
	v_cndmask_b32_e32 v4, v9, v13, vcc_lo
	v_lshrrev_b32_e32 v9, 16, v10
	v_and_b32_e32 v10, 7, v11
	v_and_or_b32 v4, 0x8000, v9, v4
	s_delay_alu instid0(VALU_DEP_2) | instskip(SKIP_4) | instid1(VALU_DEP_4)
	v_cmp_lt_i32_e32 vcc_lo, 5, v10
	v_cmp_eq_u32_e64 s0, 3, v10
	v_lshrrev_b32_e32 v10, 2, v11
	v_cndmask_b32_e64 v11, 0, 1, s1
	v_and_b32_e32 v4, 0xffff, v4
	s_or_b32 vcc_lo, s0, vcc_lo
	s_wait_alu 0xfffe
	v_add_co_ci_u32_e32 v10, vcc_lo, 0, v10, vcc_lo
	v_cmp_gt_i32_e32 vcc_lo, 31, v2
	v_lshl_or_b32 v11, v11, 9, 0x7c00
	s_wait_alu 0xfffd
	s_delay_alu instid0(VALU_DEP_3) | instskip(SKIP_2) | instid1(VALU_DEP_2)
	v_cndmask_b32_e32 v10, 0x7c00, v10, vcc_lo
	v_cmp_eq_u32_e32 vcc_lo, 0x40f, v2
	s_wait_alu 0xfffd
	v_cndmask_b32_e32 v2, v10, v11, vcc_lo
	ds_load_2addr_b32 v[9:10], v191 offset0:64 offset1:160
	v_add_co_u32 v11, vcc_lo, v6, s12
	s_wait_alu 0xfffd
	v_add_co_ci_u32_e32 v12, vcc_lo, s13, v7, vcc_lo
	v_and_or_b32 v2, 0x8000, v8, v2
	s_delay_alu instid0(VALU_DEP_1)
	v_lshl_or_b32 v2, v2, 16, v4
	global_store_b32 v[6:7], v2, off
	s_wait_dscnt 0x0
	v_lshrrev_b32_e32 v25, 16, v9
	s_wait_loadcnt 0x4
	v_mul_f16_e32 v2, v34, v9
	s_wait_loadcnt 0x3
	s_delay_alu instid0(VALU_DEP_1) | instskip(NEXT) | instid1(VALU_DEP_1)
	v_fma_f16 v2, v33, v25, -v2
	v_cvt_f32_f16_e32 v2, v2
	s_delay_alu instid0(VALU_DEP_1) | instskip(NEXT) | instid1(VALU_DEP_1)
	v_cvt_f64_f32_e32 v[6:7], v2
	v_mul_f64_e32 v[6:7], s[10:11], v[6:7]
	s_delay_alu instid0(VALU_DEP_1) | instskip(SKIP_3) | instid1(VALU_DEP_4)
	v_and_or_b32 v2, 0x1ff, v7, v6
	v_lshrrev_b32_e32 v4, 8, v7
	v_bfe_u32 v8, v7, 20, 11
	v_lshrrev_b32_e32 v7, 16, v7
	v_cmp_ne_u32_e32 vcc_lo, 0, v2
	s_wait_alu 0xfffd
	v_cndmask_b32_e64 v2, 0, 1, vcc_lo
	s_delay_alu instid0(VALU_DEP_1) | instskip(SKIP_2) | instid1(VALU_DEP_3)
	v_and_or_b32 v6, 0xffe, v4, v2
	v_sub_nc_u32_e32 v2, 0x3f1, v8
	v_add_nc_u32_e32 v8, 0xfffffc10, v8
	v_or_b32_e32 v4, 0x1000, v6
	s_delay_alu instid0(VALU_DEP_3) | instskip(NEXT) | instid1(VALU_DEP_3)
	v_med3_i32 v2, v2, 0, 13
	v_cmp_gt_i32_e64 s5, 1, v8
	s_delay_alu instid0(VALU_DEP_2) | instskip(NEXT) | instid1(VALU_DEP_1)
	v_lshrrev_b32_e32 v13, v2, v4
	v_lshlrev_b32_e32 v2, v2, v13
	s_delay_alu instid0(VALU_DEP_1) | instskip(SKIP_1) | instid1(VALU_DEP_1)
	v_cmp_ne_u32_e32 vcc_lo, v2, v4
	v_mul_f16_e32 v2, v22, v15
	v_fmac_f16_e64 v2, v213, v1
	s_delay_alu instid0(VALU_DEP_1) | instskip(NEXT) | instid1(VALU_DEP_1)
	v_cvt_f32_f16_e32 v1, v2
	v_cvt_f64_f32_e32 v[1:2], v1
	s_delay_alu instid0(VALU_DEP_1) | instskip(NEXT) | instid1(VALU_DEP_1)
	v_mul_f64_e32 v[1:2], s[10:11], v[1:2]
	v_and_or_b32 v1, 0x1ff, v2, v1
	v_lshrrev_b32_e32 v4, 8, v2
	s_delay_alu instid0(VALU_DEP_2) | instskip(SKIP_1) | instid1(VALU_DEP_1)
	v_cmp_ne_u32_e64 s0, 0, v1
	s_wait_alu 0xf1ff
	v_cndmask_b32_e64 v1, 0, 1, s0
	s_delay_alu instid0(VALU_DEP_1) | instskip(SKIP_2) | instid1(VALU_DEP_3)
	v_and_or_b32 v1, 0xffe, v4, v1
	v_bfe_u32 v4, v2, 20, 11
	v_lshrrev_b32_e32 v2, 16, v2
	v_or_b32_e32 v15, 0x1000, v1
	s_delay_alu instid0(VALU_DEP_3) | instskip(SKIP_2) | instid1(VALU_DEP_3)
	v_sub_nc_u32_e32 v14, 0x3f1, v4
	v_add_nc_u32_e32 v4, 0xfffffc10, v4
	v_cmp_ne_u32_e64 s3, 0, v1
	v_med3_i32 v14, v14, 0, 13
	s_delay_alu instid0(VALU_DEP_1) | instskip(NEXT) | instid1(VALU_DEP_1)
	v_lshrrev_b32_e32 v18, v14, v15
	v_lshlrev_b32_e32 v14, v14, v18
	s_delay_alu instid0(VALU_DEP_1) | instskip(SKIP_3) | instid1(VALU_DEP_3)
	v_cmp_ne_u32_e64 s0, v14, v15
	v_lshl_or_b32 v15, v4, 12, v1
	v_cndmask_b32_e64 v1, 0, 1, s2
	s_wait_alu 0xf1ff
	v_cndmask_b32_e64 v14, 0, 1, s0
	v_cmp_gt_i32_e64 s0, 1, v4
	s_delay_alu instid0(VALU_DEP_3) | instskip(NEXT) | instid1(VALU_DEP_3)
	v_or_b32_e32 v1, v19, v1
	v_or_b32_e32 v14, v18, v14
	v_lshrrev_b32_e32 v18, 16, v199
	s_wait_alu 0xf1ff
	s_delay_alu instid0(VALU_DEP_2) | instskip(NEXT) | instid1(VALU_DEP_1)
	v_cndmask_b32_e64 v14, v15, v14, s0
	v_and_b32_e32 v15, 7, v14
	v_lshrrev_b32_e32 v14, 2, v14
	s_delay_alu instid0(VALU_DEP_2) | instskip(SKIP_2) | instid1(VALU_DEP_2)
	v_cmp_lt_i32_e64 s0, 5, v15
	v_cmp_eq_u32_e64 s1, 3, v15
	v_add_nc_u32_e32 v15, 0xfffffc10, v17
	s_or_b32 s0, s1, s0
	s_delay_alu instid0(VALU_DEP_1)
	v_lshl_or_b32 v17, v15, 12, v16
	v_cmp_gt_i32_e64 s2, 1, v15
	s_wait_alu 0xfffe
	v_add_co_ci_u32_e64 v14, s0, 0, v14, s0
	v_cmp_gt_i32_e64 s0, 31, v4
	s_wait_alu 0xf1ff
	v_cndmask_b32_e64 v1, v17, v1, s2
	v_cndmask_b32_e64 v17, 0, 1, s3
	v_cmp_ne_u32_e64 s2, 0, v16
	v_cndmask_b32_e64 v14, 0x7c00, v14, s0
	v_cmp_eq_u32_e64 s0, 0x40f, v4
	s_delay_alu instid0(VALU_DEP_4) | instskip(SKIP_1) | instid1(VALU_DEP_1)
	v_lshl_or_b32 v17, v17, 9, 0x7c00
	s_wait_alu 0xf1ff
	v_cndmask_b32_e64 v4, v14, v17, s0
	v_and_b32_e32 v14, 7, v1
	v_lshrrev_b32_e32 v1, 2, v1
	s_delay_alu instid0(VALU_DEP_3) | instskip(NEXT) | instid1(VALU_DEP_3)
	v_and_or_b32 v2, 0x8000, v2, v4
	v_cmp_lt_i32_e64 s0, 5, v14
	v_cmp_eq_u32_e64 s1, 3, v14
	v_cndmask_b32_e64 v14, 0, 1, s2
	s_delay_alu instid0(VALU_DEP_4) | instskip(NEXT) | instid1(VALU_DEP_3)
	v_and_b32_e32 v2, 0xffff, v2
	s_or_b32 s0, s1, s0
	s_delay_alu instid0(VALU_DEP_2) | instskip(SKIP_4) | instid1(VALU_DEP_1)
	v_lshl_or_b32 v14, v14, 9, 0x7c00
	s_wait_alu 0xfffe
	v_add_co_ci_u32_e64 v1, s0, 0, v1, s0
	v_cmp_gt_i32_e64 s0, 31, v15
	s_wait_alu 0xf1ff
	v_cndmask_b32_e64 v1, 0x7c00, v1, s0
	v_cmp_eq_u32_e64 s0, 0x40f, v15
	s_wait_alu 0xf1ff
	s_delay_alu instid0(VALU_DEP_1) | instskip(SKIP_3) | instid1(VALU_DEP_3)
	v_cndmask_b32_e64 v1, v1, v14, s0
	v_add_co_u32 v14, s0, v11, s12
	s_wait_alu 0xf1ff
	v_add_co_ci_u32_e64 v15, s0, s13, v12, s0
	v_and_or_b32 v1, 0x8000, v3, v1
	ds_load_2addr_b32 v[3:4], v135 offset1:96
	v_lshl_or_b32 v1, v1, 16, v2
	global_store_b32 v[11:12], v1, off
	s_wait_dscnt 0x0
	v_lshrrev_b32_e32 v26, 16, v4
	s_wait_loadcnt 0x2
	v_mul_f16_e32 v1, v36, v4
	s_wait_loadcnt 0x1
	s_delay_alu instid0(VALU_DEP_1) | instskip(NEXT) | instid1(VALU_DEP_1)
	v_fma_f16 v1, v35, v26, -v1
	v_cvt_f32_f16_e32 v1, v1
	s_delay_alu instid0(VALU_DEP_1) | instskip(NEXT) | instid1(VALU_DEP_1)
	v_cvt_f64_f32_e32 v[1:2], v1
	v_mul_f64_e32 v[1:2], s[10:11], v[1:2]
	s_delay_alu instid0(VALU_DEP_1) | instskip(SKIP_3) | instid1(VALU_DEP_4)
	v_and_or_b32 v1, 0x1ff, v2, v1
	v_lshrrev_b32_e32 v11, 8, v2
	v_bfe_u32 v27, v2, 20, 11
	v_lshrrev_b32_e32 v2, 16, v2
	v_cmp_ne_u32_e64 s0, 0, v1
	s_wait_alu 0xf1ff
	s_delay_alu instid0(VALU_DEP_1) | instskip(NEXT) | instid1(VALU_DEP_1)
	v_cndmask_b32_e64 v1, 0, 1, s0
	v_and_or_b32 v1, 0xffe, v11, v1
	v_sub_nc_u32_e32 v11, 0x3f1, v27
	s_delay_alu instid0(VALU_DEP_2) | instskip(NEXT) | instid1(VALU_DEP_2)
	v_or_b32_e32 v12, 0x1000, v1
	v_med3_i32 v11, v11, 0, 13
	s_delay_alu instid0(VALU_DEP_1) | instskip(NEXT) | instid1(VALU_DEP_1)
	v_lshrrev_b32_e32 v28, v11, v12
	v_lshlrev_b32_e32 v11, v11, v28
	s_delay_alu instid0(VALU_DEP_1) | instskip(SKIP_4) | instid1(VALU_DEP_2)
	v_cmp_ne_u32_e64 s0, v11, v12
	ds_load_2addr_b32 v[11:12], v129 offset0:128 offset1:224
	s_wait_dscnt 0x0
	v_lshrrev_b32_e32 v16, 16, v11
	v_mul_f16_e32 v17, v18, v11
	v_mul_f16_e32 v18, v18, v16
	s_delay_alu instid0(VALU_DEP_2) | instskip(NEXT) | instid1(VALU_DEP_2)
	v_fma_f16 v19, v199, v16, -v17
	v_fmac_f16_e64 v18, v199, v11
	s_delay_alu instid0(VALU_DEP_1) | instskip(NEXT) | instid1(VALU_DEP_1)
	v_cvt_f32_f16_e32 v11, v18
	v_cvt_f64_f32_e32 v[16:17], v11
	s_delay_alu instid0(VALU_DEP_1) | instskip(NEXT) | instid1(VALU_DEP_1)
	v_mul_f64_e32 v[16:17], s[10:11], v[16:17]
	v_and_or_b32 v11, 0x1ff, v17, v16
	v_lshrrev_b32_e32 v16, 8, v17
	v_bfe_u32 v29, v17, 20, 11
	s_delay_alu instid0(VALU_DEP_3) | instskip(SKIP_1) | instid1(VALU_DEP_1)
	v_cmp_ne_u32_e64 s1, 0, v11
	s_wait_alu 0xf1ff
	v_cndmask_b32_e64 v11, 0, 1, s1
	s_delay_alu instid0(VALU_DEP_1) | instskip(SKIP_1) | instid1(VALU_DEP_2)
	v_and_or_b32 v16, 0xffe, v16, v11
	v_sub_nc_u32_e32 v11, 0x3f1, v29
	v_or_b32_e32 v18, 0x1000, v16
	s_delay_alu instid0(VALU_DEP_2) | instskip(NEXT) | instid1(VALU_DEP_1)
	v_med3_i32 v11, v11, 0, 13
	v_lshrrev_b32_e32 v30, v11, v18
	s_delay_alu instid0(VALU_DEP_1) | instskip(NEXT) | instid1(VALU_DEP_1)
	v_lshlrev_b32_e32 v11, v11, v30
	v_cmp_ne_u32_e64 s1, v11, v18
	v_cvt_f32_f16_e32 v11, v19
	s_delay_alu instid0(VALU_DEP_1) | instskip(NEXT) | instid1(VALU_DEP_1)
	v_cvt_f64_f32_e32 v[18:19], v11
	v_mul_f64_e32 v[18:19], s[10:11], v[18:19]
	s_delay_alu instid0(VALU_DEP_1) | instskip(SKIP_2) | instid1(VALU_DEP_3)
	v_and_or_b32 v11, 0x1ff, v19, v18
	v_lshrrev_b32_e32 v18, 8, v19
	v_bfe_u32 v31, v19, 20, 11
	v_cmp_ne_u32_e64 s2, 0, v11
	s_wait_alu 0xf1ff
	s_delay_alu instid0(VALU_DEP_1) | instskip(NEXT) | instid1(VALU_DEP_1)
	v_cndmask_b32_e64 v11, 0, 1, s2
	v_and_or_b32 v18, 0xffe, v18, v11
	v_sub_nc_u32_e32 v11, 0x3f1, v31
	s_delay_alu instid0(VALU_DEP_2) | instskip(NEXT) | instid1(VALU_DEP_2)
	v_or_b32_e32 v22, 0x1000, v18
	v_med3_i32 v11, v11, 0, 13
	s_delay_alu instid0(VALU_DEP_1) | instskip(NEXT) | instid1(VALU_DEP_1)
	v_lshrrev_b32_e32 v32, v11, v22
	v_lshlrev_b32_e32 v11, v11, v32
	s_delay_alu instid0(VALU_DEP_1) | instskip(SKIP_2) | instid1(VALU_DEP_1)
	v_cmp_ne_u32_e64 s2, v11, v22
	s_wait_loadcnt 0x0
	v_mad_co_u64_u32 v[22:23], null, s8, v24, 0
	v_mov_b32_e32 v11, v23
	s_delay_alu instid0(VALU_DEP_1) | instskip(SKIP_1) | instid1(VALU_DEP_1)
	v_mad_co_u64_u32 v[23:24], null, s9, v24, v[11:12]
	v_mul_f16_e32 v11, v34, v25
	v_fmac_f16_e32 v11, v33, v9
	s_delay_alu instid0(VALU_DEP_1) | instskip(NEXT) | instid1(VALU_DEP_1)
	v_cvt_f32_f16_e32 v9, v11
	v_cvt_f64_f32_e32 v[24:25], v9
	s_delay_alu instid0(VALU_DEP_1) | instskip(NEXT) | instid1(VALU_DEP_1)
	v_mul_f64_e32 v[24:25], s[10:11], v[24:25]
	v_and_or_b32 v9, 0x1ff, v25, v24
	v_lshrrev_b32_e32 v11, 8, v25
	s_delay_alu instid0(VALU_DEP_2) | instskip(SKIP_1) | instid1(VALU_DEP_1)
	v_cmp_ne_u32_e64 s3, 0, v9
	s_wait_alu 0xf1ff
	v_cndmask_b32_e64 v9, 0, 1, s3
	s_delay_alu instid0(VALU_DEP_1) | instskip(SKIP_1) | instid1(VALU_DEP_2)
	v_and_or_b32 v9, 0xffe, v11, v9
	v_bfe_u32 v11, v25, 20, 11
	v_or_b32_e32 v33, 0x1000, v9
	s_delay_alu instid0(VALU_DEP_2) | instskip(SKIP_1) | instid1(VALU_DEP_2)
	v_sub_nc_u32_e32 v24, 0x3f1, v11
	v_add_nc_u32_e32 v11, 0xfffffc10, v11
	v_med3_i32 v24, v24, 0, 13
	s_delay_alu instid0(VALU_DEP_1) | instskip(NEXT) | instid1(VALU_DEP_1)
	v_lshrrev_b32_e32 v34, v24, v33
	v_lshlrev_b32_e32 v24, v24, v34
	s_delay_alu instid0(VALU_DEP_1) | instskip(SKIP_2) | instid1(VALU_DEP_2)
	v_cmp_ne_u32_e64 s3, v24, v33
	v_lshl_or_b32 v33, v11, 12, v9
	s_wait_alu 0xf1ff
	v_cndmask_b32_e64 v24, 0, 1, s3
	v_cmp_gt_i32_e64 s3, 1, v11
	s_delay_alu instid0(VALU_DEP_2) | instskip(SKIP_1) | instid1(VALU_DEP_1)
	v_or_b32_e32 v24, v34, v24
	s_wait_alu 0xf1ff
	v_cndmask_b32_e64 v24, v33, v24, s3
	s_delay_alu instid0(VALU_DEP_1) | instskip(NEXT) | instid1(VALU_DEP_1)
	v_and_b32_e32 v33, 7, v24
	v_cmp_lt_i32_e64 s3, 5, v33
	v_cmp_eq_u32_e64 s4, 3, v33
	s_wait_alu 0xfffd
	v_cndmask_b32_e64 v33, 0, 1, vcc_lo
	v_cmp_ne_u32_e32 vcc_lo, 0, v9
	v_lshl_or_b32 v9, v8, 12, v6
	s_or_b32 s3, s4, s3
	s_delay_alu instid0(VALU_DEP_3) | instskip(SKIP_2) | instid1(VALU_DEP_3)
	v_or_b32_e32 v13, v13, v33
	v_cmp_ne_u32_e64 s4, 0, v6
	v_lshrrev_b32_e32 v6, 16, v25
	v_cndmask_b32_e64 v9, v9, v13, s5
	v_lshrrev_b32_e32 v13, 2, v24
	s_wait_alu 0xfffd
	v_cndmask_b32_e64 v24, 0, 1, vcc_lo
	v_cmp_eq_u32_e32 vcc_lo, 0x40f, v11
	s_wait_alu 0xfffe
	v_add_co_ci_u32_e64 v13, s3, 0, v13, s3
	v_cmp_gt_i32_e64 s3, 31, v11
	v_lshl_or_b32 v24, v24, 9, 0x7c00
	s_wait_alu 0xf1ff
	s_delay_alu instid0(VALU_DEP_2) | instskip(SKIP_1) | instid1(VALU_DEP_1)
	v_cndmask_b32_e64 v13, 0x7c00, v13, s3
	s_wait_alu 0xfffd
	v_cndmask_b32_e32 v11, v13, v24, vcc_lo
	v_and_b32_e32 v13, 7, v9
	v_lshrrev_b32_e32 v9, 2, v9
	s_delay_alu instid0(VALU_DEP_3) | instskip(NEXT) | instid1(VALU_DEP_3)
	v_and_or_b32 v6, 0x8000, v6, v11
	v_cmp_lt_i32_e32 vcc_lo, 5, v13
	v_cmp_eq_u32_e64 s3, 3, v13
	v_cndmask_b32_e64 v13, 0, 1, s4
	s_delay_alu instid0(VALU_DEP_4) | instskip(NEXT) | instid1(VALU_DEP_3)
	v_and_b32_e32 v6, 0xffff, v6
	s_or_b32 vcc_lo, s3, vcc_lo
	s_delay_alu instid0(VALU_DEP_2) | instskip(SKIP_4) | instid1(VALU_DEP_2)
	v_lshl_or_b32 v13, v13, 9, 0x7c00
	s_wait_alu 0xfffe
	v_add_co_ci_u32_e32 v9, vcc_lo, 0, v9, vcc_lo
	v_cmp_gt_i32_e32 vcc_lo, 31, v8
	s_wait_alu 0xfffd
	v_cndmask_b32_e32 v9, 0x7c00, v9, vcc_lo
	v_cmp_eq_u32_e32 vcc_lo, 0x40f, v8
	s_wait_alu 0xfffd
	s_delay_alu instid0(VALU_DEP_2) | instskip(SKIP_1) | instid1(VALU_DEP_2)
	v_cndmask_b32_e32 v8, v9, v13, vcc_lo
	v_add_co_u32 v13, vcc_lo, v14, s12
	v_and_or_b32 v7, 0x8000, v7, v8
	v_mul_f16_e32 v8, v36, v26
	s_delay_alu instid0(VALU_DEP_2) | instskip(NEXT) | instid1(VALU_DEP_2)
	v_lshl_or_b32 v6, v7, 16, v6
	v_fmac_f16_e32 v8, v35, v4
	global_store_b32 v[14:15], v6, off
	v_cvt_f32_f16_e32 v4, v8
	v_lshlrev_b64_e32 v[6:7], 2, v[22:23]
	s_wait_alu 0xfffd
	v_add_co_ci_u32_e32 v14, vcc_lo, s13, v15, vcc_lo
	s_delay_alu instid0(VALU_DEP_3) | instskip(NEXT) | instid1(VALU_DEP_3)
	v_cvt_f64_f32_e32 v[8:9], v4
	v_add_co_u32 v6, vcc_lo, v21, v6
	s_wait_alu 0xfffd
	v_add_co_ci_u32_e32 v7, vcc_lo, v20, v7, vcc_lo
	s_delay_alu instid0(VALU_DEP_3) | instskip(NEXT) | instid1(VALU_DEP_1)
	v_mul_f64_e32 v[8:9], s[10:11], v[8:9]
	v_and_or_b32 v4, 0x1ff, v9, v8
	v_lshrrev_b32_e32 v8, 8, v9
	s_delay_alu instid0(VALU_DEP_2) | instskip(SKIP_2) | instid1(VALU_DEP_1)
	v_cmp_ne_u32_e32 vcc_lo, 0, v4
	s_wait_alu 0xfffd
	v_cndmask_b32_e64 v4, 0, 1, vcc_lo
	v_and_or_b32 v4, 0xffe, v8, v4
	v_bfe_u32 v8, v9, 20, 11
	v_lshrrev_b32_e32 v9, 16, v9
	s_delay_alu instid0(VALU_DEP_3) | instskip(NEXT) | instid1(VALU_DEP_3)
	v_or_b32_e32 v15, 0x1000, v4
	v_sub_nc_u32_e32 v11, 0x3f1, v8
	v_add_nc_u32_e32 v8, 0xfffffc10, v8
	v_cmp_ne_u32_e64 s4, 0, v4
	s_delay_alu instid0(VALU_DEP_3) | instskip(NEXT) | instid1(VALU_DEP_1)
	v_med3_i32 v11, v11, 0, 13
	v_lshrrev_b32_e32 v22, v11, v15
	s_delay_alu instid0(VALU_DEP_1) | instskip(NEXT) | instid1(VALU_DEP_1)
	v_lshlrev_b32_e32 v11, v11, v22
	v_cmp_ne_u32_e32 vcc_lo, v11, v15
	v_lshl_or_b32 v15, v8, 12, v4
	v_cndmask_b32_e64 v4, 0, 1, s0
	s_wait_alu 0xfffd
	v_cndmask_b32_e64 v11, 0, 1, vcc_lo
	v_cmp_gt_i32_e32 vcc_lo, 1, v8
	s_delay_alu instid0(VALU_DEP_3) | instskip(NEXT) | instid1(VALU_DEP_3)
	v_or_b32_e32 v4, v28, v4
	v_or_b32_e32 v11, v22, v11
	s_wait_alu 0xfffd
	s_delay_alu instid0(VALU_DEP_1) | instskip(NEXT) | instid1(VALU_DEP_1)
	v_cndmask_b32_e32 v11, v15, v11, vcc_lo
	v_and_b32_e32 v15, 7, v11
	v_lshrrev_b32_e32 v11, 2, v11
	s_delay_alu instid0(VALU_DEP_2) | instskip(SKIP_2) | instid1(VALU_DEP_2)
	v_cmp_lt_i32_e32 vcc_lo, 5, v15
	v_cmp_eq_u32_e64 s3, 3, v15
	v_add_nc_u32_e32 v15, 0xfffffc10, v27
	s_or_b32 vcc_lo, s3, vcc_lo
	s_delay_alu instid0(VALU_DEP_1)
	v_lshl_or_b32 v22, v15, 12, v1
	v_cmp_gt_i32_e64 s0, 1, v15
	s_wait_alu 0xfffe
	v_add_co_ci_u32_e32 v11, vcc_lo, 0, v11, vcc_lo
	v_cmp_gt_i32_e32 vcc_lo, 31, v8
	v_cmp_ne_u32_e64 s3, 0, v1
	s_wait_alu 0xf1ff
	v_cndmask_b32_e64 v4, v22, v4, s0
	v_cndmask_b32_e64 v22, 0, 1, s4
	;; [unrolled: 1-line block ×3, first 2 shown]
	s_wait_alu 0xfffd
	v_cndmask_b32_e32 v11, 0x7c00, v11, vcc_lo
	v_cmp_eq_u32_e32 vcc_lo, 0x40f, v8
	v_cmp_ne_u32_e64 s1, 0, v16
	v_lshl_or_b32 v22, v22, 9, 0x7c00
	v_or_b32_e32 v1, v30, v1
	s_wait_alu 0xfffd
	s_delay_alu instid0(VALU_DEP_2) | instskip(SKIP_1) | instid1(VALU_DEP_2)
	v_dual_cndmask_b32 v8, v11, v22 :: v_dual_and_b32 v11, 7, v4
	v_lshrrev_b32_e32 v4, 2, v4
	v_and_or_b32 v8, 0x8000, v9, v8
	s_delay_alu instid0(VALU_DEP_3) | instskip(SKIP_2) | instid1(VALU_DEP_4)
	v_cmp_lt_i32_e32 vcc_lo, 5, v11
	v_cmp_eq_u32_e64 s0, 3, v11
	v_cndmask_b32_e64 v9, 0, 1, s3
	v_and_b32_e32 v8, 0xffff, v8
	s_delay_alu instid0(VALU_DEP_3) | instskip(NEXT) | instid1(VALU_DEP_2)
	s_or_b32 vcc_lo, s0, vcc_lo
	v_lshl_or_b32 v9, v9, 9, 0x7c00
	s_wait_alu 0xfffe
	v_add_co_ci_u32_e32 v4, vcc_lo, 0, v4, vcc_lo
	v_cmp_gt_i32_e32 vcc_lo, 31, v15
	s_wait_alu 0xfffd
	s_delay_alu instid0(VALU_DEP_2) | instskip(SKIP_2) | instid1(VALU_DEP_2)
	v_cndmask_b32_e32 v4, 0x7c00, v4, vcc_lo
	v_cmp_eq_u32_e32 vcc_lo, 0x40f, v15
	s_wait_alu 0xfffd
	v_cndmask_b32_e32 v4, v4, v9, vcc_lo
	v_add_nc_u32_e32 v9, 0xfffffc10, v29
	s_delay_alu instid0(VALU_DEP_2) | instskip(NEXT) | instid1(VALU_DEP_2)
	v_and_or_b32 v2, 0x8000, v2, v4
	v_lshl_or_b32 v11, v9, 12, v16
	v_cmp_gt_i32_e32 vcc_lo, 1, v9
	v_cndmask_b32_e64 v4, 0, 1, s2
	s_delay_alu instid0(VALU_DEP_4) | instskip(SKIP_4) | instid1(VALU_DEP_2)
	v_lshl_or_b32 v2, v2, 16, v8
	s_wait_alu 0xfffd
	v_cndmask_b32_e32 v1, v11, v1, vcc_lo
	v_add_nc_u32_e32 v11, 0xfffffc10, v31
	v_or_b32_e32 v4, v32, v4
	v_lshl_or_b32 v15, v11, 12, v18
	v_cmp_gt_i32_e32 vcc_lo, 1, v11
	s_wait_alu 0xfffd
	s_delay_alu instid0(VALU_DEP_2) | instskip(SKIP_1) | instid1(VALU_DEP_2)
	v_dual_cndmask_b32 v4, v15, v4 :: v_dual_and_b32 v15, 7, v1
	v_lshrrev_b32_e32 v1, 2, v1
	v_cmp_lt_i32_e32 vcc_lo, 5, v15
	v_cmp_eq_u32_e64 s0, 3, v15
	s_delay_alu instid0(VALU_DEP_4) | instskip(SKIP_1) | instid1(VALU_DEP_3)
	v_and_b32_e32 v15, 7, v4
	v_lshrrev_b32_e32 v4, 2, v4
	s_or_b32 vcc_lo, s0, vcc_lo
	s_delay_alu instid0(VALU_DEP_2)
	v_cmp_lt_i32_e64 s2, 5, v15
	s_wait_alu 0xfffe
	v_add_co_ci_u32_e32 v1, vcc_lo, 0, v1, vcc_lo
	v_cmp_eq_u32_e64 s3, 3, v15
	v_cmp_gt_i32_e32 vcc_lo, 31, v9
	v_cndmask_b32_e64 v15, 0, 1, s1
	s_delay_alu instid0(VALU_DEP_3) | instskip(SKIP_2) | instid1(VALU_DEP_2)
	s_or_b32 s0, s3, s2
	s_wait_alu 0xfffd
	v_cndmask_b32_e32 v1, 0x7c00, v1, vcc_lo
	v_lshl_or_b32 v15, v15, 9, 0x7c00
	v_cmp_eq_u32_e32 vcc_lo, 0x40f, v9
	s_wait_alu 0xfffe
	v_add_co_ci_u32_e64 v4, s0, 0, v4, s0
	v_cmp_gt_i32_e64 s0, 31, v11
	v_lshrrev_b32_e32 v9, 16, v17
	s_wait_alu 0xfffd
	v_cndmask_b32_e32 v1, v1, v15, vcc_lo
	v_cmp_ne_u32_e32 vcc_lo, 0, v18
	s_wait_alu 0xf1ff
	v_cndmask_b32_e64 v4, 0x7c00, v4, s0
	s_delay_alu instid0(VALU_DEP_3)
	v_and_or_b32 v1, 0x8000, v9, v1
	s_wait_alu 0xfffd
	v_cndmask_b32_e64 v15, 0, 1, vcc_lo
	v_cmp_eq_u32_e32 vcc_lo, 0x40f, v11
	v_lshrrev_b32_e32 v11, 16, v19
	v_and_b32_e32 v1, 0xffff, v1
	s_delay_alu instid0(VALU_DEP_4) | instskip(SKIP_1) | instid1(VALU_DEP_1)
	v_lshl_or_b32 v15, v15, 9, 0x7c00
	s_wait_alu 0xfffd
	v_cndmask_b32_e32 v4, v4, v15, vcc_lo
	s_delay_alu instid0(VALU_DEP_1) | instskip(NEXT) | instid1(VALU_DEP_1)
	v_and_or_b32 v4, 0x8000, v11, v4
	v_lshl_or_b32 v1, v4, 16, v1
	s_clause 0x1
	global_store_b32 v[13:14], v2, off
	global_store_b32 v[6:7], v1, off
	s_clause 0x5
	scratch_load_b32 v33, off, off offset:212 th:TH_LOAD_LU
	scratch_load_b32 v32, off, off offset:208 th:TH_LOAD_LU
	;; [unrolled: 1-line block ×6, first 2 shown]
	ds_load_2addr_b32 v[6:7], v127 offset0:64 offset1:160
	ds_load_2addr_b32 v[8:9], v121 offset0:64 offset1:160
	s_wait_dscnt 0x1
	v_lshrrev_b32_e32 v24, 16, v7
	s_wait_dscnt 0x0
	v_lshrrev_b32_e32 v29, 16, v8
	s_wait_loadcnt 0x5
	v_mul_f16_e32 v1, v33, v7
	s_wait_loadcnt 0x4
	s_delay_alu instid0(VALU_DEP_1) | instskip(NEXT) | instid1(VALU_DEP_1)
	v_fma_f16 v1, v32, v24, -v1
	v_cvt_f32_f16_e32 v1, v1
	s_delay_alu instid0(VALU_DEP_1) | instskip(NEXT) | instid1(VALU_DEP_1)
	v_cvt_f64_f32_e32 v[1:2], v1
	v_mul_f64_e32 v[18:19], s[10:11], v[1:2]
	s_delay_alu instid0(VALU_DEP_1) | instskip(SKIP_3) | instid1(VALU_DEP_4)
	v_and_or_b32 v1, 0x1ff, v19, v18
	v_lshrrev_b32_e32 v2, 8, v19
	v_bfe_u32 v27, v19, 20, 11
	v_lshrrev_b32_e32 v19, 16, v19
	v_cmp_ne_u32_e32 vcc_lo, 0, v1
	s_wait_alu 0xfffd
	v_cndmask_b32_e64 v1, 0, 1, vcc_lo
	s_delay_alu instid0(VALU_DEP_1) | instskip(SKIP_1) | instid1(VALU_DEP_2)
	v_and_or_b32 v26, 0xffe, v2, v1
	v_sub_nc_u32_e32 v1, 0x3f1, v27
	v_or_b32_e32 v2, 0x1000, v26
	s_delay_alu instid0(VALU_DEP_2) | instskip(NEXT) | instid1(VALU_DEP_1)
	v_med3_i32 v1, v1, 0, 13
	v_lshrrev_b32_e32 v28, v1, v2
	s_delay_alu instid0(VALU_DEP_1) | instskip(NEXT) | instid1(VALU_DEP_1)
	v_lshlrev_b32_e32 v1, v1, v28
	v_cmp_ne_u32_e64 s0, v1, v2
	s_wait_loadcnt 0x3
	v_mul_f16_e32 v1, v37, v8
	s_wait_loadcnt 0x2
	s_delay_alu instid0(VALU_DEP_1) | instskip(NEXT) | instid1(VALU_DEP_1)
	v_fma_f16 v1, v36, v29, -v1
	v_cvt_f32_f16_e32 v1, v1
	s_delay_alu instid0(VALU_DEP_1) | instskip(NEXT) | instid1(VALU_DEP_1)
	v_cvt_f64_f32_e32 v[1:2], v1
	v_mul_f64_e32 v[22:23], s[10:11], v[1:2]
	s_delay_alu instid0(VALU_DEP_1) | instskip(SKIP_2) | instid1(VALU_DEP_3)
	v_and_or_b32 v1, 0x1ff, v23, v22
	v_lshrrev_b32_e32 v2, 8, v23
	v_bfe_u32 v30, v23, 20, 11
	v_cmp_ne_u32_e32 vcc_lo, 0, v1
	s_wait_alu 0xfffd
	v_cndmask_b32_e64 v1, 0, 1, vcc_lo
	v_add_co_u32 v13, vcc_lo, v13, s14
	s_wait_alu 0xfffd
	v_add_co_ci_u32_e32 v14, vcc_lo, s15, v14, vcc_lo
	s_delay_alu instid0(VALU_DEP_3) | instskip(SKIP_1) | instid1(VALU_DEP_2)
	v_and_or_b32 v22, 0xffe, v2, v1
	v_sub_nc_u32_e32 v1, 0x3f1, v30
	v_or_b32_e32 v2, 0x1000, v22
	s_delay_alu instid0(VALU_DEP_2) | instskip(NEXT) | instid1(VALU_DEP_1)
	v_med3_i32 v1, v1, 0, 13
	v_lshrrev_b32_e32 v31, v1, v2
	s_delay_alu instid0(VALU_DEP_1) | instskip(NEXT) | instid1(VALU_DEP_1)
	v_lshlrev_b32_e32 v1, v1, v31
	v_cmp_ne_u32_e64 s1, v1, v2
	ds_load_2addr_b32 v[1:2], v119 offset0:128 offset1:224
	s_wait_dscnt 0x0
	v_lshrrev_b32_e32 v4, 16, v2
	s_wait_loadcnt 0x1
	v_mul_f16_e32 v11, v35, v2
	s_wait_loadcnt 0x0
	s_delay_alu instid0(VALU_DEP_1) | instskip(SKIP_1) | instid1(VALU_DEP_2)
	v_fma_f16 v11, v34, v4, -v11
	v_mul_f16_e32 v4, v35, v4
	v_cvt_f32_f16_e32 v11, v11
	s_delay_alu instid0(VALU_DEP_2) | instskip(NEXT) | instid1(VALU_DEP_2)
	v_fmac_f16_e32 v4, v34, v2
	v_cvt_f64_f32_e32 v[15:16], v11
	s_delay_alu instid0(VALU_DEP_2) | instskip(NEXT) | instid1(VALU_DEP_2)
	v_cvt_f32_f16_e32 v2, v4
	v_mul_f64_e32 v[15:16], s[10:11], v[15:16]
	s_delay_alu instid0(VALU_DEP_1) | instskip(SKIP_3) | instid1(VALU_DEP_4)
	v_and_or_b32 v11, 0x1ff, v16, v15
	v_lshrrev_b32_e32 v15, 8, v16
	v_bfe_u32 v17, v16, 20, 11
	v_lshrrev_b32_e32 v16, 16, v16
	v_cmp_ne_u32_e32 vcc_lo, 0, v11
	s_wait_alu 0xfffd
	v_cndmask_b32_e64 v11, 0, 1, vcc_lo
	s_delay_alu instid0(VALU_DEP_1) | instskip(SKIP_2) | instid1(VALU_DEP_3)
	v_and_or_b32 v11, 0xffe, v15, v11
	v_sub_nc_u32_e32 v15, 0x3f1, v17
	v_add_nc_u32_e32 v17, 0xfffffc10, v17
	v_or_b32_e32 v25, 0x1000, v11
	s_delay_alu instid0(VALU_DEP_3) | instskip(NEXT) | instid1(VALU_DEP_1)
	v_med3_i32 v15, v15, 0, 13
	v_lshrrev_b32_e32 v18, v15, v25
	s_delay_alu instid0(VALU_DEP_1) | instskip(NEXT) | instid1(VALU_DEP_1)
	v_lshlrev_b32_e32 v15, v15, v18
	v_cmp_ne_u32_e32 vcc_lo, v15, v25
	v_mul_f16_e32 v15, v33, v24
	s_delay_alu instid0(VALU_DEP_1) | instskip(NEXT) | instid1(VALU_DEP_1)
	v_fmac_f16_e32 v15, v32, v7
	v_cvt_f32_f16_e32 v7, v15
	s_delay_alu instid0(VALU_DEP_1) | instskip(NEXT) | instid1(VALU_DEP_1)
	v_cvt_f64_f32_e32 v[24:25], v7
	v_mul_f64_e32 v[24:25], s[10:11], v[24:25]
	s_delay_alu instid0(VALU_DEP_1) | instskip(SKIP_1) | instid1(VALU_DEP_2)
	v_and_or_b32 v7, 0x1ff, v25, v24
	v_lshrrev_b32_e32 v15, 8, v25
	v_cmp_ne_u32_e64 s2, 0, v7
	s_wait_alu 0xf1ff
	s_delay_alu instid0(VALU_DEP_1) | instskip(NEXT) | instid1(VALU_DEP_1)
	v_cndmask_b32_e64 v7, 0, 1, s2
	v_and_or_b32 v7, 0xffe, v15, v7
	v_bfe_u32 v15, v25, 20, 11
	s_delay_alu instid0(VALU_DEP_2) | instskip(NEXT) | instid1(VALU_DEP_2)
	v_or_b32_e32 v32, 0x1000, v7
	v_sub_nc_u32_e32 v24, 0x3f1, v15
	v_add_nc_u32_e32 v15, 0xfffffc10, v15
	s_delay_alu instid0(VALU_DEP_2) | instskip(NEXT) | instid1(VALU_DEP_1)
	v_med3_i32 v24, v24, 0, 13
	v_lshrrev_b32_e32 v33, v24, v32
	s_delay_alu instid0(VALU_DEP_1) | instskip(NEXT) | instid1(VALU_DEP_1)
	v_lshlrev_b32_e32 v24, v24, v33
	v_cmp_ne_u32_e64 s2, v24, v32
	v_lshl_or_b32 v32, v15, 12, v7
	s_wait_alu 0xf1ff
	s_delay_alu instid0(VALU_DEP_2) | instskip(SKIP_1) | instid1(VALU_DEP_2)
	v_cndmask_b32_e64 v24, 0, 1, s2
	v_cmp_gt_i32_e64 s2, 1, v15
	v_or_b32_e32 v24, v33, v24
	s_wait_alu 0xf1ff
	s_delay_alu instid0(VALU_DEP_1) | instskip(NEXT) | instid1(VALU_DEP_1)
	v_cndmask_b32_e64 v24, v32, v24, s2
	v_and_b32_e32 v32, 7, v24
	v_lshrrev_b32_e32 v24, 2, v24
	s_delay_alu instid0(VALU_DEP_2) | instskip(SKIP_4) | instid1(VALU_DEP_4)
	v_cmp_lt_i32_e64 s2, 5, v32
	v_cmp_eq_u32_e64 s3, 3, v32
	v_cndmask_b32_e64 v32, 0, 1, s0
	v_cmp_ne_u32_e64 s0, 0, v7
	v_add_nc_u32_e32 v7, 0xfffffc10, v27
	s_or_b32 s2, s3, s2
	s_delay_alu instid0(VALU_DEP_3)
	v_or_b32_e32 v28, v28, v32
	s_wait_alu 0xfffe
	v_add_co_ci_u32_e64 v24, s2, 0, v24, s2
	v_lshl_or_b32 v27, v7, 12, v26
	v_cmp_gt_i32_e64 s4, 1, v7
	v_cmp_gt_i32_e64 s2, 31, v15
	v_cmp_ne_u32_e64 s3, 0, v26
	s_wait_alu 0xf1ff
	s_delay_alu instid0(VALU_DEP_3) | instskip(SKIP_4) | instid1(VALU_DEP_4)
	v_cndmask_b32_e64 v27, v27, v28, s4
	v_cndmask_b32_e64 v28, 0, 1, s0
	;; [unrolled: 1-line block ×3, first 2 shown]
	v_cmp_eq_u32_e64 s0, 0x40f, v15
	v_cndmask_b32_e64 v26, 0, 1, s3
	v_lshl_or_b32 v28, v28, 9, 0x7c00
	s_delay_alu instid0(VALU_DEP_2) | instskip(SKIP_1) | instid1(VALU_DEP_2)
	v_lshl_or_b32 v26, v26, 9, 0x7c00
	s_wait_alu 0xf1ff
	v_cndmask_b32_e64 v15, v24, v28, s0
	v_and_b32_e32 v24, 7, v27
	s_delay_alu instid0(VALU_DEP_1)
	v_cmp_lt_i32_e64 s0, 5, v24
	v_cmp_eq_u32_e64 s2, 3, v24
	v_lshrrev_b32_e32 v24, 16, v25
	v_lshrrev_b32_e32 v25, 2, v27
	scratch_load_b32 v27, off, off offset:184 th:TH_LOAD_LU ; 4-byte Folded Reload
	s_or_b32 s0, s2, s0
	v_and_or_b32 v15, 0x8000, v24, v15
	s_wait_alu 0xfffe
	v_add_co_ci_u32_e64 v25, s0, 0, v25, s0
	v_cmp_gt_i32_e64 s0, 31, v7
	s_delay_alu instid0(VALU_DEP_3) | instskip(SKIP_1) | instid1(VALU_DEP_2)
	v_and_b32_e32 v15, 0xffff, v15
	s_wait_alu 0xf1ff
	v_cndmask_b32_e64 v25, 0x7c00, v25, s0
	v_cmp_eq_u32_e64 s0, 0x40f, v7
	s_wait_alu 0xf1ff
	s_delay_alu instid0(VALU_DEP_1) | instskip(SKIP_3) | instid1(VALU_DEP_3)
	v_cndmask_b32_e64 v7, v25, v26, s0
	v_add_co_u32 v24, s0, v13, s12
	s_wait_alu 0xf1ff
	v_add_co_ci_u32_e64 v25, s0, s13, v14, s0
	v_and_or_b32 v7, 0x8000, v19, v7
	scratch_load_b32 v19, off, off offset:188 th:TH_LOAD_LU ; 4-byte Folded Reload
	v_lshl_or_b32 v7, v7, 16, v15
	global_store_b32 v[13:14], v7, off
	ds_load_2addr_b32 v[14:15], v118 offset1:96
	s_wait_dscnt 0x0
	v_lshrrev_b32_e32 v7, 16, v14
	s_wait_loadcnt 0x0
	v_mul_f16_e32 v13, v19, v14
	s_delay_alu instid0(VALU_DEP_2) | instskip(NEXT) | instid1(VALU_DEP_2)
	v_mul_f16_e32 v19, v19, v7
	v_fma_f16 v26, v27, v7, -v13
	s_delay_alu instid0(VALU_DEP_2) | instskip(NEXT) | instid1(VALU_DEP_1)
	v_fmac_f16_e32 v19, v27, v14
	v_cvt_f32_f16_e32 v7, v19
	s_delay_alu instid0(VALU_DEP_1) | instskip(NEXT) | instid1(VALU_DEP_1)
	v_cvt_f64_f32_e32 v[13:14], v7
	v_mul_f64_e32 v[13:14], s[10:11], v[13:14]
	s_delay_alu instid0(VALU_DEP_1) | instskip(SKIP_2) | instid1(VALU_DEP_3)
	v_and_or_b32 v7, 0x1ff, v14, v13
	v_lshrrev_b32_e32 v13, 8, v14
	v_bfe_u32 v28, v14, 20, 11
	v_cmp_ne_u32_e64 s0, 0, v7
	s_wait_alu 0xf1ff
	s_delay_alu instid0(VALU_DEP_1) | instskip(NEXT) | instid1(VALU_DEP_1)
	v_cndmask_b32_e64 v7, 0, 1, s0
	v_and_or_b32 v19, 0xffe, v13, v7
	v_sub_nc_u32_e32 v7, 0x3f1, v28
	s_delay_alu instid0(VALU_DEP_2) | instskip(NEXT) | instid1(VALU_DEP_2)
	v_or_b32_e32 v13, 0x1000, v19
	v_med3_i32 v7, v7, 0, 13
	s_delay_alu instid0(VALU_DEP_1) | instskip(NEXT) | instid1(VALU_DEP_1)
	v_lshrrev_b32_e32 v32, v7, v13
	v_lshlrev_b32_e32 v7, v7, v32
	s_delay_alu instid0(VALU_DEP_1) | instskip(SKIP_1) | instid1(VALU_DEP_1)
	v_cmp_ne_u32_e64 s0, v7, v13
	v_mul_f16_e32 v7, v37, v29
	v_fmac_f16_e32 v7, v36, v8
	s_delay_alu instid0(VALU_DEP_1) | instskip(NEXT) | instid1(VALU_DEP_1)
	v_cvt_f32_f16_e32 v7, v7
	v_cvt_f64_f32_e32 v[7:8], v7
	s_delay_alu instid0(VALU_DEP_1) | instskip(NEXT) | instid1(VALU_DEP_1)
	v_mul_f64_e32 v[7:8], s[10:11], v[7:8]
	v_and_or_b32 v7, 0x1ff, v8, v7
	v_lshrrev_b32_e32 v13, 8, v8
	s_delay_alu instid0(VALU_DEP_2) | instskip(SKIP_1) | instid1(VALU_DEP_1)
	v_cmp_ne_u32_e64 s2, 0, v7
	s_wait_alu 0xf1ff
	v_cndmask_b32_e64 v7, 0, 1, s2
	s_delay_alu instid0(VALU_DEP_1) | instskip(SKIP_2) | instid1(VALU_DEP_3)
	v_and_or_b32 v7, 0xffe, v13, v7
	v_bfe_u32 v13, v8, 20, 11
	v_lshrrev_b32_e32 v8, 16, v8
	v_or_b32_e32 v29, 0x1000, v7
	s_delay_alu instid0(VALU_DEP_3) | instskip(SKIP_2) | instid1(VALU_DEP_3)
	v_sub_nc_u32_e32 v27, 0x3f1, v13
	v_add_nc_u32_e32 v13, 0xfffffc10, v13
	v_cmp_ne_u32_e64 s4, 0, v7
	v_med3_i32 v27, v27, 0, 13
	s_delay_alu instid0(VALU_DEP_1) | instskip(NEXT) | instid1(VALU_DEP_1)
	v_lshrrev_b32_e32 v33, v27, v29
	v_lshlrev_b32_e32 v27, v27, v33
	s_delay_alu instid0(VALU_DEP_1) | instskip(SKIP_3) | instid1(VALU_DEP_3)
	v_cmp_ne_u32_e64 s2, v27, v29
	v_lshl_or_b32 v29, v13, 12, v7
	v_cndmask_b32_e64 v7, 0, 1, s1
	s_wait_alu 0xf1ff
	v_cndmask_b32_e64 v27, 0, 1, s2
	v_cmp_gt_i32_e64 s2, 1, v13
	s_delay_alu instid0(VALU_DEP_3) | instskip(NEXT) | instid1(VALU_DEP_3)
	v_or_b32_e32 v7, v31, v7
	v_or_b32_e32 v27, v33, v27
	s_wait_alu 0xf1ff
	s_delay_alu instid0(VALU_DEP_1) | instskip(NEXT) | instid1(VALU_DEP_1)
	v_cndmask_b32_e64 v27, v29, v27, s2
	v_and_b32_e32 v29, 7, v27
	v_lshrrev_b32_e32 v27, 2, v27
	s_delay_alu instid0(VALU_DEP_2) | instskip(SKIP_2) | instid1(VALU_DEP_1)
	v_cmp_lt_i32_e64 s2, 5, v29
	v_cmp_eq_u32_e64 s3, 3, v29
	v_add_nc_u32_e32 v29, 0xfffffc10, v30
	v_lshl_or_b32 v30, v29, 12, v22
	v_cmp_gt_i32_e64 s1, 1, v29
	s_wait_alu 0xf1ff
	s_delay_alu instid0(VALU_DEP_1)
	v_cndmask_b32_e64 v7, v30, v7, s1
	s_or_b32 s1, s3, s2
	v_cndmask_b32_e64 v30, 0, 1, s4
	s_wait_alu 0xfffe
	v_add_co_ci_u32_e64 v27, s1, 0, v27, s1
	v_cmp_gt_i32_e64 s1, 31, v13
	v_cmp_ne_u32_e64 s3, 0, v22
	v_lshl_or_b32 v30, v30, 9, 0x7c00
	s_wait_alu 0xf1ff
	s_delay_alu instid0(VALU_DEP_3) | instskip(SKIP_3) | instid1(VALU_DEP_2)
	v_cndmask_b32_e64 v27, 0x7c00, v27, s1
	v_cmp_eq_u32_e64 s1, 0x40f, v13
	v_cndmask_b32_e64 v22, 0, 1, s3
	s_wait_alu 0xf1ff
	v_cndmask_b32_e64 v13, v27, v30, s1
	v_and_b32_e32 v27, 7, v7
	v_lshrrev_b32_e32 v7, 2, v7
	v_lshl_or_b32 v22, v22, 9, 0x7c00
	s_delay_alu instid0(VALU_DEP_4) | instskip(NEXT) | instid1(VALU_DEP_4)
	v_and_or_b32 v8, 0x8000, v8, v13
	v_cmp_lt_i32_e64 s1, 5, v27
	v_cmp_eq_u32_e64 s2, 3, v27
	s_delay_alu instid0(VALU_DEP_3) | instskip(NEXT) | instid1(VALU_DEP_2)
	v_and_b32_e32 v8, 0xffff, v8
	s_or_b32 s1, s2, s1
	s_wait_alu 0xfffe
	v_add_co_ci_u32_e64 v7, s1, 0, v7, s1
	v_cmp_gt_i32_e64 s1, 31, v29
	s_wait_alu 0xf1ff
	s_delay_alu instid0(VALU_DEP_1) | instskip(SKIP_2) | instid1(VALU_DEP_1)
	v_cndmask_b32_e64 v7, 0x7c00, v7, s1
	v_cmp_eq_u32_e64 s1, 0x40f, v29
	s_wait_alu 0xf1ff
	v_cndmask_b32_e64 v7, v7, v22, s1
	v_lshrrev_b32_e32 v22, 16, v23
	s_delay_alu instid0(VALU_DEP_1) | instskip(NEXT) | instid1(VALU_DEP_1)
	v_and_or_b32 v7, 0x8000, v22, v7
	v_lshl_or_b32 v7, v7, 16, v8
	global_store_b32 v[24:25], v7, off
	v_add_co_u32 v7, s1, v24, s12
	scratch_load_b32 v24, off, off offset:180 th:TH_LOAD_LU ; 4-byte Folded Reload
	s_wait_alu 0xf1ff
	v_add_co_ci_u32_e64 v8, s1, s13, v25, s1
	s_wait_loadcnt 0x0
	v_mad_co_u64_u32 v[22:23], null, s8, v24, 0
	s_delay_alu instid0(VALU_DEP_1) | instskip(NEXT) | instid1(VALU_DEP_1)
	v_mov_b32_e32 v13, v23
	v_mad_co_u64_u32 v[23:24], null, s9, v24, v[13:14]
	v_cvt_f32_f16_e32 v13, v26
	s_delay_alu instid0(VALU_DEP_1) | instskip(NEXT) | instid1(VALU_DEP_3)
	v_cvt_f64_f32_e32 v[24:25], v13
	v_lshlrev_b64_e32 v[22:23], 2, v[22:23]
	s_delay_alu instid0(VALU_DEP_1) | instskip(SKIP_1) | instid1(VALU_DEP_2)
	v_add_co_u32 v22, s2, v21, v22
	s_wait_alu 0xf1ff
	v_add_co_ci_u32_e64 v23, s2, v20, v23, s2
	s_delay_alu instid0(VALU_DEP_4) | instskip(NEXT) | instid1(VALU_DEP_1)
	v_mul_f64_e32 v[24:25], s[10:11], v[24:25]
	v_and_or_b32 v13, 0x1ff, v25, v24
	v_lshrrev_b32_e32 v24, 8, v25
	s_delay_alu instid0(VALU_DEP_2) | instskip(SKIP_1) | instid1(VALU_DEP_1)
	v_cmp_ne_u32_e64 s1, 0, v13
	s_wait_alu 0xf1ff
	v_cndmask_b32_e64 v13, 0, 1, s1
	s_delay_alu instid0(VALU_DEP_1) | instskip(SKIP_1) | instid1(VALU_DEP_2)
	v_and_or_b32 v13, 0xffe, v24, v13
	v_bfe_u32 v24, v25, 20, 11
	v_or_b32_e32 v27, 0x1000, v13
	s_delay_alu instid0(VALU_DEP_2) | instskip(NEXT) | instid1(VALU_DEP_1)
	v_sub_nc_u32_e32 v26, 0x3f1, v24
	v_med3_i32 v26, v26, 0, 13
	s_delay_alu instid0(VALU_DEP_1) | instskip(NEXT) | instid1(VALU_DEP_1)
	v_lshrrev_b32_e32 v29, v26, v27
	v_lshlrev_b32_e32 v26, v26, v29
	s_delay_alu instid0(VALU_DEP_1) | instskip(SKIP_1) | instid1(VALU_DEP_1)
	v_cmp_ne_u32_e64 s1, v26, v27
	v_cvt_f64_f32_e32 v[26:27], v2
	v_mul_f64_e32 v[26:27], s[10:11], v[26:27]
	s_delay_alu instid0(VALU_DEP_1) | instskip(SKIP_1) | instid1(VALU_DEP_2)
	v_and_or_b32 v2, 0x1ff, v27, v26
	v_lshrrev_b32_e32 v4, 8, v27
	v_cmp_ne_u32_e64 s2, 0, v2
	s_wait_alu 0xf1ff
	s_delay_alu instid0(VALU_DEP_1) | instskip(NEXT) | instid1(VALU_DEP_1)
	v_cndmask_b32_e64 v2, 0, 1, s2
	v_and_or_b32 v2, 0xffe, v4, v2
	v_bfe_u32 v4, v27, 20, 11
	s_delay_alu instid0(VALU_DEP_2) | instskip(NEXT) | instid1(VALU_DEP_2)
	v_or_b32_e32 v30, 0x1000, v2
	v_sub_nc_u32_e32 v26, 0x3f1, v4
	v_add_nc_u32_e32 v4, 0xfffffc10, v4
	v_cmp_ne_u32_e64 s3, 0, v2
	s_delay_alu instid0(VALU_DEP_3) | instskip(NEXT) | instid1(VALU_DEP_1)
	v_med3_i32 v26, v26, 0, 13
	v_lshrrev_b32_e32 v31, v26, v30
	s_delay_alu instid0(VALU_DEP_1) | instskip(NEXT) | instid1(VALU_DEP_1)
	v_lshlrev_b32_e32 v26, v26, v31
	v_cmp_ne_u32_e64 s2, v26, v30
	v_lshl_or_b32 v30, v4, 12, v2
	s_wait_alu 0xf1ff
	s_delay_alu instid0(VALU_DEP_2) | instskip(SKIP_1) | instid1(VALU_DEP_2)
	v_cndmask_b32_e64 v26, 0, 1, s2
	v_cmp_gt_i32_e64 s2, 1, v4
	v_or_b32_e32 v26, v31, v26
	s_wait_alu 0xf1ff
	s_delay_alu instid0(VALU_DEP_1) | instskip(SKIP_3) | instid1(VALU_DEP_2)
	v_cndmask_b32_e64 v26, v30, v26, s2
	s_wait_alu 0xfffd
	v_cndmask_b32_e64 v30, 0, 1, vcc_lo
	v_cmp_gt_i32_e32 vcc_lo, 1, v17
	v_or_b32_e32 v18, v18, v30
	v_lshl_or_b32 v30, v17, 12, v11
	s_wait_alu 0xfffd
	s_delay_alu instid0(VALU_DEP_1) | instskip(SKIP_1) | instid1(VALU_DEP_2)
	v_cndmask_b32_e32 v18, v30, v18, vcc_lo
	v_and_b32_e32 v30, 7, v26
	v_and_b32_e32 v2, 7, v18
	s_delay_alu instid0(VALU_DEP_2) | instskip(SKIP_1) | instid1(VALU_DEP_3)
	v_cmp_lt_i32_e32 vcc_lo, 5, v30
	v_cmp_eq_u32_e64 s2, 3, v30
	v_cmp_lt_i32_e64 s4, 5, v2
	v_cmp_eq_u32_e64 s5, 3, v2
	v_lshrrev_b32_e32 v2, 2, v26
	s_delay_alu instid0(VALU_DEP_4) | instskip(SKIP_1) | instid1(VALU_DEP_3)
	s_or_b32 vcc_lo, s2, vcc_lo
	v_cndmask_b32_e64 v26, 0, 1, s3
	s_or_b32 s2, s5, s4
	s_wait_alu 0xfffe
	v_add_co_ci_u32_e32 v2, vcc_lo, 0, v2, vcc_lo
	v_cmp_gt_i32_e32 vcc_lo, 31, v4
	v_lshl_or_b32 v26, v26, 9, 0x7c00
	s_wait_alu 0xfffd
	s_delay_alu instid0(VALU_DEP_3) | instskip(SKIP_3) | instid1(VALU_DEP_3)
	v_cndmask_b32_e32 v2, 0x7c00, v2, vcc_lo
	v_cmp_eq_u32_e32 vcc_lo, 0x40f, v4
	v_lshrrev_b32_e32 v4, 16, v27
	s_wait_alu 0xfffd
	v_cndmask_b32_e32 v2, v2, v26, vcc_lo
	v_cmp_ne_u32_e32 vcc_lo, 0, v11
	v_lshrrev_b32_e32 v11, 2, v18
	s_delay_alu instid0(VALU_DEP_3) | instskip(SKIP_2) | instid1(VALU_DEP_3)
	v_and_or_b32 v2, 0x8000, v4, v2
	s_wait_alu 0xfffd
	v_cndmask_b32_e64 v18, 0, 1, vcc_lo
	v_add_co_ci_u32_e64 v11, s2, 0, v11, s2
	v_cmp_gt_i32_e64 s2, 31, v17
	v_cmp_eq_u32_e32 vcc_lo, 0x40f, v17
	s_delay_alu instid0(VALU_DEP_4) | instskip(SKIP_4) | instid1(VALU_DEP_3)
	v_lshl_or_b32 v18, v18, 9, 0x7c00
	v_cndmask_b32_e64 v17, 0, 1, s0
	v_and_b32_e32 v2, 0xffff, v2
	s_wait_alu 0xf1ff
	v_cndmask_b32_e64 v11, 0x7c00, v11, s2
	v_or_b32_e32 v17, v32, v17
	s_wait_alu 0xfffd
	s_delay_alu instid0(VALU_DEP_2) | instskip(NEXT) | instid1(VALU_DEP_1)
	v_dual_cndmask_b32 v11, v11, v18 :: v_dual_add_nc_u32 v18, 0xfffffc10, v28
	v_and_or_b32 v4, 0x8000, v16, v11
	s_delay_alu instid0(VALU_DEP_2) | instskip(SKIP_2) | instid1(VALU_DEP_4)
	v_lshl_or_b32 v26, v18, 12, v19
	v_cmp_gt_i32_e32 vcc_lo, 1, v18
	v_add_nc_u32_e32 v16, 0xfffffc10, v24
	v_lshl_or_b32 v2, v4, 16, v2
	s_wait_alu 0xfffd
	v_cndmask_b32_e32 v17, v26, v17, vcc_lo
	s_delay_alu instid0(VALU_DEP_3) | instskip(NEXT) | instid1(VALU_DEP_2)
	v_cmp_gt_i32_e64 s2, 1, v16
	v_and_b32_e32 v11, 7, v17
	v_lshrrev_b32_e32 v17, 2, v17
	s_delay_alu instid0(VALU_DEP_2) | instskip(SKIP_4) | instid1(VALU_DEP_4)
	v_cmp_lt_i32_e32 vcc_lo, 5, v11
	v_cmp_eq_u32_e64 s0, 3, v11
	v_cndmask_b32_e64 v11, 0, 1, s1
	v_cmp_ne_u32_e64 s1, 0, v19
	v_lshl_or_b32 v19, v16, 12, v13
	s_or_b32 vcc_lo, s0, vcc_lo
	s_delay_alu instid0(VALU_DEP_3) | instskip(SKIP_3) | instid1(VALU_DEP_3)
	v_or_b32_e32 v11, v29, v11
	s_wait_alu 0xfffe
	v_add_co_ci_u32_e32 v17, vcc_lo, 0, v17, vcc_lo
	v_cmp_gt_i32_e32 vcc_lo, 31, v18
	v_cndmask_b32_e64 v11, v19, v11, s2
	v_cndmask_b32_e64 v19, 0, 1, s1
	v_cmp_ne_u32_e64 s1, 0, v13
	s_wait_alu 0xfffd
	v_cndmask_b32_e32 v17, 0x7c00, v17, vcc_lo
	v_cmp_eq_u32_e32 vcc_lo, 0x40f, v18
	v_and_b32_e32 v18, 7, v11
	v_lshl_or_b32 v19, v19, 9, 0x7c00
	v_lshrrev_b32_e32 v11, 2, v11
	v_lshrrev_b32_e32 v13, 16, v14
	s_wait_alu 0xf1ff
	v_cndmask_b32_e64 v14, 0, 1, s1
	v_cmp_eq_u32_e64 s0, 3, v18
	s_wait_alu 0xfffd
	v_cndmask_b32_e32 v17, v17, v19, vcc_lo
	v_cmp_lt_i32_e32 vcc_lo, 5, v18
	v_lshl_or_b32 v14, v14, 9, 0x7c00
	s_delay_alu instid0(VALU_DEP_3)
	v_and_or_b32 v13, 0x8000, v13, v17
	s_or_b32 vcc_lo, s0, vcc_lo
	s_wait_alu 0xfffe
	v_add_co_ci_u32_e32 v11, vcc_lo, 0, v11, vcc_lo
	v_cmp_gt_i32_e32 vcc_lo, 31, v16
	s_wait_alu 0xfffd
	s_delay_alu instid0(VALU_DEP_2) | instskip(SKIP_2) | instid1(VALU_DEP_2)
	v_cndmask_b32_e32 v11, 0x7c00, v11, vcc_lo
	v_cmp_eq_u32_e32 vcc_lo, 0x40f, v16
	s_wait_alu 0xfffd
	v_cndmask_b32_e32 v11, v11, v14, vcc_lo
	v_lshrrev_b32_e32 v14, 16, v25
	s_delay_alu instid0(VALU_DEP_1) | instskip(SKIP_1) | instid1(VALU_DEP_1)
	v_and_or_b32 v4, 0x8000, v14, v11
	v_and_b32_e32 v11, 0xffff, v13
	v_lshl_or_b32 v4, v4, 16, v11
	global_store_b32 v[7:8], v2, off
	global_store_b32 v[22:23], v4, off
	s_clause 0x6
	scratch_load_b32 v4, off, off offset:172 th:TH_LOAD_LU
	scratch_load_b32 v25, off, off offset:176 th:TH_LOAD_LU
	;; [unrolled: 1-line block ×7, first 2 shown]
	v_lshrrev_b32_e32 v2, 16, v5
	s_wait_loadcnt 0x6
	s_delay_alu instid0(VALU_DEP_1) | instskip(SKIP_2) | instid1(VALU_DEP_2)
	v_mul_f16_e32 v11, v4, v2
	v_mul_f16_e32 v4, v4, v5
	s_wait_loadcnt 0x3
	v_fmac_f16_e32 v11, v13, v5
	s_delay_alu instid0(VALU_DEP_2)
	v_fma_f16 v2, v13, v2, -v4
	ds_load_2addr_b32 v[4:5], v110 offset0:64 offset1:160
	v_cvt_f32_f16_e32 v11, v11
	v_cvt_f32_f16_e32 v2, v2
	s_wait_dscnt 0x0
	v_lshrrev_b32_e32 v30, 16, v5
	s_wait_loadcnt 0x1
	v_mul_f16_e32 v13, v41, v5
	s_wait_loadcnt 0x0
	s_delay_alu instid0(VALU_DEP_1) | instskip(SKIP_1) | instid1(VALU_DEP_2)
	v_fma_f16 v13, v40, v30, -v13
	v_mul_f16_e32 v30, v41, v30
	v_cvt_f32_f16_e32 v13, v13
	s_delay_alu instid0(VALU_DEP_2) | instskip(NEXT) | instid1(VALU_DEP_2)
	v_fmac_f16_e32 v30, v40, v5
	v_cvt_f64_f32_e32 v[13:14], v13
	s_delay_alu instid0(VALU_DEP_2) | instskip(NEXT) | instid1(VALU_DEP_2)
	v_cvt_f32_f16_e32 v5, v30
	v_mul_f64_e32 v[16:17], s[10:11], v[13:14]
	s_delay_alu instid0(VALU_DEP_1) | instskip(SKIP_3) | instid1(VALU_DEP_4)
	v_and_or_b32 v13, 0x1ff, v17, v16
	v_lshrrev_b32_e32 v14, 8, v17
	v_bfe_u32 v32, v17, 20, 11
	v_lshrrev_b32_e32 v17, 16, v17
	v_cmp_ne_u32_e32 vcc_lo, 0, v13
	s_wait_alu 0xfffd
	v_cndmask_b32_e64 v13, 0, 1, vcc_lo
	s_delay_alu instid0(VALU_DEP_1) | instskip(SKIP_2) | instid1(VALU_DEP_3)
	v_and_or_b32 v16, 0xffe, v14, v13
	v_sub_nc_u32_e32 v13, 0x3f1, v32
	v_add_nc_u32_e32 v32, 0xfffffc10, v32
	v_or_b32_e32 v14, 0x1000, v16
	s_delay_alu instid0(VALU_DEP_3) | instskip(NEXT) | instid1(VALU_DEP_1)
	v_med3_i32 v13, v13, 0, 13
	v_lshrrev_b32_e32 v33, v13, v14
	s_delay_alu instid0(VALU_DEP_1) | instskip(NEXT) | instid1(VALU_DEP_1)
	v_lshlrev_b32_e32 v13, v13, v33
	v_cmp_ne_u32_e64 s2, v13, v14
	v_cvt_f64_f32_e32 v[13:14], v11
	s_delay_alu instid0(VALU_DEP_1) | instskip(NEXT) | instid1(VALU_DEP_1)
	v_mul_f64_e32 v[18:19], s[10:11], v[13:14]
	v_and_or_b32 v11, 0x1ff, v19, v18
	v_lshrrev_b32_e32 v13, 8, v19
	v_bfe_u32 v18, v19, 20, 11
	s_delay_alu instid0(VALU_DEP_3) | instskip(SKIP_2) | instid1(VALU_DEP_1)
	v_cmp_ne_u32_e32 vcc_lo, 0, v11
	s_wait_alu 0xfffd
	v_cndmask_b32_e64 v11, 0, 1, vcc_lo
	v_and_or_b32 v11, 0xffe, v13, v11
	v_sub_nc_u32_e32 v13, 0x3f1, v18
	v_add_nc_u32_e32 v18, 0xfffffc10, v18
	s_delay_alu instid0(VALU_DEP_3) | instskip(NEXT) | instid1(VALU_DEP_3)
	v_or_b32_e32 v14, 0x1000, v11
	v_med3_i32 v13, v13, 0, 13
	s_delay_alu instid0(VALU_DEP_1) | instskip(NEXT) | instid1(VALU_DEP_1)
	v_lshrrev_b32_e32 v34, v13, v14
	v_lshlrev_b32_e32 v13, v13, v34
	s_delay_alu instid0(VALU_DEP_1) | instskip(SKIP_1) | instid1(VALU_DEP_1)
	v_cmp_ne_u32_e64 s1, v13, v14
	v_cvt_f64_f32_e32 v[13:14], v2
	v_mul_f64_e32 v[22:23], s[10:11], v[13:14]
	s_delay_alu instid0(VALU_DEP_1) | instskip(SKIP_2) | instid1(VALU_DEP_3)
	v_and_or_b32 v2, 0x1ff, v23, v22
	v_lshrrev_b32_e32 v13, 8, v23
	v_bfe_u32 v35, v23, 20, 11
	v_cmp_ne_u32_e32 vcc_lo, 0, v2
	s_wait_alu 0xfffd
	v_cndmask_b32_e64 v2, 0, 1, vcc_lo
	v_add_co_u32 v7, vcc_lo, v7, s14
	s_wait_alu 0xfffd
	v_add_co_ci_u32_e32 v8, vcc_lo, s15, v8, vcc_lo
	s_delay_alu instid0(VALU_DEP_3) | instskip(SKIP_1) | instid1(VALU_DEP_2)
	v_and_or_b32 v22, 0xffe, v13, v2
	v_sub_nc_u32_e32 v2, 0x3f1, v35
	v_or_b32_e32 v13, 0x1000, v22
	s_delay_alu instid0(VALU_DEP_2) | instskip(NEXT) | instid1(VALU_DEP_1)
	v_med3_i32 v2, v2, 0, 13
	v_lshrrev_b32_e32 v36, v2, v13
	s_delay_alu instid0(VALU_DEP_1) | instskip(NEXT) | instid1(VALU_DEP_1)
	v_lshlrev_b32_e32 v2, v2, v36
	v_cmp_ne_u32_e64 s0, v2, v13
	ds_load_2addr_b32 v[13:14], v107 offset0:128 offset1:224
	s_wait_dscnt 0x0
	v_lshrrev_b32_e32 v2, 16, v13
	v_mul_f16_e32 v24, v25, v13
	s_delay_alu instid0(VALU_DEP_2) | instskip(NEXT) | instid1(VALU_DEP_2)
	v_mul_f16_e32 v25, v25, v2
	v_fma_f16 v29, v26, v2, -v24
	s_delay_alu instid0(VALU_DEP_2) | instskip(NEXT) | instid1(VALU_DEP_1)
	v_fmac_f16_e32 v25, v26, v13
	v_cvt_f32_f16_e32 v2, v25
	s_delay_alu instid0(VALU_DEP_1) | instskip(NEXT) | instid1(VALU_DEP_1)
	v_cvt_f64_f32_e32 v[24:25], v2
	v_mul_f64_e32 v[24:25], s[10:11], v[24:25]
	s_delay_alu instid0(VALU_DEP_1) | instskip(SKIP_2) | instid1(VALU_DEP_3)
	v_and_or_b32 v2, 0x1ff, v25, v24
	v_lshrrev_b32_e32 v13, 8, v25
	v_bfe_u32 v24, v25, 20, 11
	v_cmp_ne_u32_e32 vcc_lo, 0, v2
	s_wait_alu 0xfffd
	v_cndmask_b32_e64 v2, 0, 1, vcc_lo
	s_delay_alu instid0(VALU_DEP_1) | instskip(SKIP_1) | instid1(VALU_DEP_2)
	v_and_or_b32 v13, 0xffe, v13, v2
	v_sub_nc_u32_e32 v2, 0x3f1, v24
	v_or_b32_e32 v26, 0x1000, v13
	s_delay_alu instid0(VALU_DEP_2) | instskip(NEXT) | instid1(VALU_DEP_1)
	v_med3_i32 v2, v2, 0, 13
	v_lshrrev_b32_e32 v37, v2, v26
	s_delay_alu instid0(VALU_DEP_1) | instskip(NEXT) | instid1(VALU_DEP_1)
	v_lshlrev_b32_e32 v2, v2, v37
	v_cmp_ne_u32_e32 vcc_lo, v2, v26
	v_mad_co_u64_u32 v[26:27], null, s8, v28, 0
	s_delay_alu instid0(VALU_DEP_1) | instskip(NEXT) | instid1(VALU_DEP_1)
	v_mov_b32_e32 v2, v27
	v_mad_co_u64_u32 v[27:28], null, s9, v28, v[2:3]
	v_cvt_f32_f16_e32 v2, v29
	s_delay_alu instid0(VALU_DEP_1) | instskip(NEXT) | instid1(VALU_DEP_3)
	v_cvt_f64_f32_e32 v[28:29], v2
	v_lshlrev_b64_e32 v[26:27], 2, v[26:27]
	s_delay_alu instid0(VALU_DEP_1) | instskip(SKIP_1) | instid1(VALU_DEP_2)
	v_add_co_u32 v26, s4, v21, v26
	s_wait_alu 0xf1ff
	v_add_co_ci_u32_e64 v27, s4, v20, v27, s4
	s_delay_alu instid0(VALU_DEP_4) | instskip(NEXT) | instid1(VALU_DEP_1)
	v_mul_f64_e32 v[28:29], s[10:11], v[28:29]
	v_and_or_b32 v2, 0x1ff, v29, v28
	v_lshrrev_b32_e32 v28, 8, v29
	s_delay_alu instid0(VALU_DEP_2) | instskip(SKIP_1) | instid1(VALU_DEP_1)
	v_cmp_ne_u32_e64 s3, 0, v2
	s_wait_alu 0xf1ff
	v_cndmask_b32_e64 v2, 0, 1, s3
	s_delay_alu instid0(VALU_DEP_1) | instskip(SKIP_1) | instid1(VALU_DEP_2)
	v_and_or_b32 v2, 0xffe, v28, v2
	v_bfe_u32 v28, v29, 20, 11
	v_or_b32_e32 v38, 0x1000, v2
	s_delay_alu instid0(VALU_DEP_2) | instskip(NEXT) | instid1(VALU_DEP_1)
	v_sub_nc_u32_e32 v31, 0x3f1, v28
	v_med3_i32 v31, v31, 0, 13
	s_delay_alu instid0(VALU_DEP_1) | instskip(NEXT) | instid1(VALU_DEP_1)
	v_lshrrev_b32_e32 v39, v31, v38
	v_lshlrev_b32_e32 v31, v31, v39
	s_delay_alu instid0(VALU_DEP_1) | instskip(SKIP_1) | instid1(VALU_DEP_1)
	v_cmp_ne_u32_e64 s3, v31, v38
	v_cvt_f64_f32_e32 v[30:31], v5
	v_mul_f64_e32 v[30:31], s[10:11], v[30:31]
	s_delay_alu instid0(VALU_DEP_1) | instskip(SKIP_1) | instid1(VALU_DEP_2)
	v_and_or_b32 v5, 0x1ff, v31, v30
	v_lshrrev_b32_e32 v30, 8, v31
	v_cmp_ne_u32_e64 s4, 0, v5
	s_wait_alu 0xf1ff
	s_delay_alu instid0(VALU_DEP_1) | instskip(NEXT) | instid1(VALU_DEP_1)
	v_cndmask_b32_e64 v5, 0, 1, s4
	v_and_or_b32 v5, 0xffe, v30, v5
	v_bfe_u32 v30, v31, 20, 11
	v_lshrrev_b32_e32 v31, 16, v31
	s_delay_alu instid0(VALU_DEP_3) | instskip(NEXT) | instid1(VALU_DEP_3)
	v_or_b32_e32 v40, 0x1000, v5
	v_sub_nc_u32_e32 v38, 0x3f1, v30
	v_add_nc_u32_e32 v30, 0xfffffc10, v30
	v_cmp_ne_u32_e64 s6, 0, v5
	s_delay_alu instid0(VALU_DEP_3) | instskip(NEXT) | instid1(VALU_DEP_1)
	v_med3_i32 v38, v38, 0, 13
	v_lshrrev_b32_e32 v41, v38, v40
	s_delay_alu instid0(VALU_DEP_1) | instskip(NEXT) | instid1(VALU_DEP_1)
	v_lshlrev_b32_e32 v38, v38, v41
	v_cmp_ne_u32_e64 s4, v38, v40
	v_lshl_or_b32 v40, v30, 12, v5
	v_cndmask_b32_e64 v5, 0, 1, s2
	v_cmp_gt_i32_e64 s2, 1, v32
	s_wait_alu 0xf1ff
	v_cndmask_b32_e64 v38, 0, 1, s4
	v_cmp_gt_i32_e64 s4, 1, v30
	v_or_b32_e32 v5, v33, v5
	v_lshl_or_b32 v33, v32, 12, v16
	s_delay_alu instid0(VALU_DEP_4) | instskip(NEXT) | instid1(VALU_DEP_2)
	v_or_b32_e32 v38, v41, v38
	v_cndmask_b32_e64 v5, v33, v5, s2
	s_wait_alu 0xf1ff
	s_delay_alu instid0(VALU_DEP_2) | instskip(NEXT) | instid1(VALU_DEP_1)
	v_cndmask_b32_e64 v38, v40, v38, s4
	v_and_b32_e32 v40, 7, v38
	v_lshrrev_b32_e32 v33, 2, v38
	v_cndmask_b32_e64 v38, 0, 1, s6
	s_delay_alu instid0(VALU_DEP_3) | instskip(SKIP_1) | instid1(VALU_DEP_3)
	v_cmp_lt_i32_e64 s4, 5, v40
	v_cmp_eq_u32_e64 s5, 3, v40
	v_lshl_or_b32 v38, v38, 9, 0x7c00
	s_delay_alu instid0(VALU_DEP_2)
	s_or_b32 s2, s5, s4
	v_cmp_ne_u32_e64 s5, 0, v16
	s_wait_alu 0xfffe
	v_add_co_ci_u32_e64 v33, s2, 0, v33, s2
	v_cmp_gt_i32_e64 s2, 31, v30
	v_cndmask_b32_e64 v16, 0, 1, s1
	s_wait_alu 0xf1ff
	s_delay_alu instid0(VALU_DEP_2) | instskip(SKIP_1) | instid1(VALU_DEP_3)
	v_cndmask_b32_e64 v33, 0x7c00, v33, s2
	v_cmp_eq_u32_e64 s2, 0x40f, v30
	v_or_b32_e32 v16, v34, v16
	s_wait_alu 0xf1ff
	s_delay_alu instid0(VALU_DEP_2) | instskip(SKIP_2) | instid1(VALU_DEP_3)
	v_cndmask_b32_e64 v30, v33, v38, s2
	v_and_b32_e32 v33, 7, v5
	v_lshrrev_b32_e32 v5, 2, v5
	v_and_or_b32 v30, 0x8000, v31, v30
	s_delay_alu instid0(VALU_DEP_3) | instskip(SKIP_2) | instid1(VALU_DEP_2)
	v_cmp_lt_i32_e64 s2, 5, v33
	v_cmp_eq_u32_e64 s4, 3, v33
	v_cndmask_b32_e64 v33, 0, 1, s5
	s_or_b32 s1, s4, s2
	s_delay_alu instid0(VALU_DEP_1) | instskip(SKIP_4) | instid1(VALU_DEP_1)
	v_lshl_or_b32 v33, v33, 9, 0x7c00
	s_wait_alu 0xfffe
	v_add_co_ci_u32_e64 v5, s1, 0, v5, s1
	v_cmp_gt_i32_e64 s1, 31, v32
	s_wait_alu 0xf1ff
	v_cndmask_b32_e64 v5, 0x7c00, v5, s1
	v_cmp_eq_u32_e64 s1, 0x40f, v32
	v_lshl_or_b32 v32, v18, 12, v11
	s_wait_alu 0xf1ff
	s_delay_alu instid0(VALU_DEP_2) | instskip(SKIP_1) | instid1(VALU_DEP_2)
	v_cndmask_b32_e64 v5, v5, v33, s1
	v_cmp_gt_i32_e64 s1, 1, v18
	v_and_or_b32 v5, 0x8000, v17, v5
	s_wait_alu 0xf1ff
	s_delay_alu instid0(VALU_DEP_2) | instskip(NEXT) | instid1(VALU_DEP_1)
	v_cndmask_b32_e64 v16, v32, v16, s1
	v_and_b32_e32 v17, 7, v16
	v_lshrrev_b32_e32 v16, 2, v16
	s_delay_alu instid0(VALU_DEP_2) | instskip(SKIP_4) | instid1(VALU_DEP_4)
	v_cmp_lt_i32_e64 s1, 5, v17
	v_cmp_eq_u32_e64 s2, 3, v17
	v_cndmask_b32_e64 v17, 0, 1, s0
	v_cmp_ne_u32_e64 s0, 0, v11
	v_add_nc_u32_e32 v11, 0xfffffc10, v35
	s_or_b32 s1, s2, s1
	s_delay_alu instid0(VALU_DEP_3)
	v_or_b32_e32 v17, v36, v17
	s_wait_alu 0xfffe
	v_add_co_ci_u32_e64 v16, s1, 0, v16, s1
	v_lshl_or_b32 v31, v11, 12, v22
	v_cmp_gt_i32_e64 s4, 1, v11
	v_cmp_gt_i32_e64 s1, 31, v18
	v_cmp_ne_u32_e64 s2, 0, v22
	v_add_nc_u32_e32 v22, 0xfffffc10, v24
	s_wait_alu 0xf1ff
	v_cndmask_b32_e64 v17, v31, v17, s4
	v_cndmask_b32_e64 v31, 0, 1, s0
	v_cndmask_b32_e64 v16, 0x7c00, v16, s1
	v_cmp_eq_u32_e64 s0, 0x40f, v18
	s_delay_alu instid0(VALU_DEP_4) | instskip(NEXT) | instid1(VALU_DEP_4)
	v_and_b32_e32 v18, 7, v17
	v_lshl_or_b32 v31, v31, 9, 0x7c00
	v_lshrrev_b32_e32 v17, 2, v17
	s_delay_alu instid0(VALU_DEP_3) | instskip(SKIP_1) | instid1(VALU_DEP_3)
	v_cmp_eq_u32_e64 s1, 3, v18
	s_wait_alu 0xf1ff
	v_cndmask_b32_e64 v16, v16, v31, s0
	v_cmp_lt_i32_e64 s0, 5, v18
	v_lshrrev_b32_e32 v18, 16, v19
	v_cndmask_b32_e64 v19, 0, 1, s2
	s_delay_alu instid0(VALU_DEP_3)
	s_or_b32 s0, s1, s0
	v_cmp_ne_u32_e64 s1, 0, v13
	s_wait_alu 0xfffe
	v_add_co_ci_u32_e64 v17, s0, 0, v17, s0
	v_cmp_gt_i32_e64 s0, 31, v11
	v_lshl_or_b32 v19, v19, 9, 0x7c00
	v_and_or_b32 v16, 0x8000, v18, v16
	s_wait_alu 0xf1ff
	s_delay_alu instid0(VALU_DEP_3) | instskip(SKIP_1) | instid1(VALU_DEP_3)
	v_cndmask_b32_e64 v17, 0x7c00, v17, s0
	v_cmp_eq_u32_e64 s0, 0x40f, v11
	v_and_b32_e32 v16, 0xffff, v16
	s_wait_alu 0xf1ff
	s_delay_alu instid0(VALU_DEP_2)
	v_cndmask_b32_e64 v11, v17, v19, s0
	s_wait_alu 0xfffd
	v_cndmask_b32_e64 v19, 0, 1, vcc_lo
	v_lshrrev_b32_e32 v17, 16, v23
	v_lshl_or_b32 v23, v22, 12, v13
	v_cmp_gt_i32_e32 vcc_lo, 1, v22
	v_add_nc_u32_e32 v13, 0xfffffc10, v28
	v_or_b32_e32 v19, v37, v19
	v_and_or_b32 v11, 0x8000, v17, v11
	s_delay_alu instid0(VALU_DEP_3) | instskip(SKIP_1) | instid1(VALU_DEP_3)
	v_lshl_or_b32 v18, v13, 12, v2
	s_wait_alu 0xfffd
	v_cndmask_b32_e32 v19, v23, v19, vcc_lo
	v_cmp_gt_i32_e64 s2, 1, v13
	v_and_b32_e32 v23, 0xffff, v30
	v_lshl_or_b32 v11, v11, 16, v16
	s_delay_alu instid0(VALU_DEP_4) | instskip(NEXT) | instid1(VALU_DEP_3)
	v_and_b32_e32 v17, 7, v19
	v_lshl_or_b32 v5, v5, 16, v23
	s_delay_alu instid0(VALU_DEP_2)
	v_cmp_lt_i32_e32 vcc_lo, 5, v17
	v_cmp_eq_u32_e64 s0, 3, v17
	v_cndmask_b32_e64 v17, 0, 1, s3
	global_store_b32 v[7:8], v5, off
	s_or_b32 vcc_lo, s0, vcc_lo
	v_or_b32_e32 v17, v39, v17
	s_delay_alu instid0(VALU_DEP_1) | instskip(SKIP_3) | instid1(VALU_DEP_4)
	v_cndmask_b32_e64 v17, v18, v17, s2
	v_lshrrev_b32_e32 v18, 2, v19
	v_cndmask_b32_e64 v19, 0, 1, s1
	v_cmp_ne_u32_e64 s1, 0, v2
	v_lshrrev_b32_e32 v2, 2, v17
	s_wait_alu 0xfffe
	v_add_co_ci_u32_e32 v18, vcc_lo, 0, v18, vcc_lo
	v_cmp_gt_i32_e32 vcc_lo, 31, v22
	v_lshl_or_b32 v19, v19, 9, 0x7c00
	s_wait_alu 0xfffd
	s_delay_alu instid0(VALU_DEP_3)
	v_cndmask_b32_e32 v18, 0x7c00, v18, vcc_lo
	v_cmp_eq_u32_e32 vcc_lo, 0x40f, v22
	v_and_b32_e32 v22, 7, v17
	s_wait_alu 0xf1ff
	v_cndmask_b32_e64 v17, 0, 1, s1
	s_wait_alu 0xfffd
	v_cndmask_b32_e32 v18, v18, v19, vcc_lo
	v_cmp_lt_i32_e32 vcc_lo, 5, v22
	v_cmp_eq_u32_e64 s0, 3, v22
	v_lshrrev_b32_e32 v19, 16, v25
	v_lshl_or_b32 v17, v17, 9, 0x7c00
	s_delay_alu instid0(VALU_DEP_3) | instskip(NEXT) | instid1(VALU_DEP_2)
	s_or_b32 vcc_lo, s0, vcc_lo
	v_and_or_b32 v18, 0x8000, v19, v18
	s_wait_alu 0xfffe
	v_add_co_ci_u32_e32 v2, vcc_lo, 0, v2, vcc_lo
	v_cmp_gt_i32_e32 vcc_lo, 31, v13
	s_mul_i32 s0, s9, 0xffffd900
	v_and_b32_e32 v5, 0xffff, v18
	s_wait_alu 0xfffe
	s_sub_co_i32 s0, s0, s8
	s_wait_alu 0xfffd
	v_cndmask_b32_e32 v2, 0x7c00, v2, vcc_lo
	v_cmp_eq_u32_e32 vcc_lo, 0x40f, v13
	v_lshrrev_b32_e32 v13, 16, v29
	s_wait_alu 0xfffd
	s_delay_alu instid0(VALU_DEP_3) | instskip(SKIP_1) | instid1(VALU_DEP_2)
	v_cndmask_b32_e32 v2, v2, v17, vcc_lo
	v_mad_co_u64_u32 v[16:17], null, 0xffffd900, s8, v[7:8]
	v_and_or_b32 v2, 0x8000, v13, v2
	s_wait_alu 0xfffe
	s_delay_alu instid0(VALU_DEP_2) | instskip(NEXT) | instid1(VALU_DEP_2)
	v_add_nc_u32_e32 v17, s0, v17
	v_lshl_or_b32 v2, v2, 16, v5
	global_store_b32 v[16:17], v11, off
	global_store_b32 v[26:27], v2, off
	s_clause 0x3
	scratch_load_b32 v5, off, off offset:136 th:TH_LOAD_LU
	scratch_load_b32 v31, off, off offset:140 th:TH_LOAD_LU
	;; [unrolled: 1-line block ×4, first 2 shown]
	v_lshrrev_b32_e32 v2, 16, v10
	v_add_co_u32 v16, s1, v16, s14
	s_wait_alu 0xf1ff
	v_add_co_ci_u32_e64 v17, s1, s15, v17, s1
	s_wait_loadcnt 0x3
	v_mul_f16_e32 v18, v5, v2
	v_mul_f16_e32 v5, v5, v10
	s_wait_loadcnt 0x1
	s_delay_alu instid0(VALU_DEP_2) | instskip(NEXT) | instid1(VALU_DEP_2)
	v_fmac_f16_e32 v18, v7, v10
	v_fma_f16 v2, v7, v2, -v5
	s_delay_alu instid0(VALU_DEP_2) | instskip(NEXT) | instid1(VALU_DEP_2)
	v_cvt_f32_f16_e32 v18, v18
	v_cvt_f32_f16_e32 v2, v2
	s_delay_alu instid0(VALU_DEP_1) | instskip(NEXT) | instid1(VALU_DEP_1)
	v_cvt_f64_f32_e32 v[7:8], v2
	v_mul_f64_e32 v[10:11], s[10:11], v[7:8]
	s_clause 0x1
	scratch_load_b32 v7, off, off offset:152 th:TH_LOAD_LU
	scratch_load_b32 v8, off, off offset:148 th:TH_LOAD_LU
	v_and_or_b32 v2, 0x1ff, v11, v10
	v_lshrrev_b32_e32 v5, 8, v11
	v_bfe_u32 v24, v11, 20, 11
	v_lshrrev_b32_e32 v11, 16, v11
	s_delay_alu instid0(VALU_DEP_4) | instskip(SKIP_2) | instid1(VALU_DEP_1)
	v_cmp_ne_u32_e32 vcc_lo, 0, v2
	s_wait_alu 0xfffd
	v_cndmask_b32_e64 v2, 0, 1, vcc_lo
	v_and_or_b32 v10, 0xffe, v5, v2
	v_sub_nc_u32_e32 v2, 0x3f1, v24
	v_add_nc_u32_e32 v24, 0xfffffc10, v24
	s_delay_alu instid0(VALU_DEP_3) | instskip(NEXT) | instid1(VALU_DEP_3)
	v_or_b32_e32 v5, 0x1000, v10
	v_med3_i32 v2, v2, 0, 13
	s_delay_alu instid0(VALU_DEP_1) | instskip(NEXT) | instid1(VALU_DEP_1)
	v_lshrrev_b32_e32 v25, v2, v5
	v_lshlrev_b32_e32 v2, v2, v25
	s_delay_alu instid0(VALU_DEP_1) | instskip(SKIP_2) | instid1(VALU_DEP_1)
	v_cmp_ne_u32_e64 s0, v2, v5
	v_lshrrev_b32_e32 v5, 16, v12
	s_wait_loadcnt 0x1
	v_mul_f16_e32 v2, v7, v5
	v_mul_f16_e32 v7, v7, v12
	s_wait_loadcnt 0x0
	s_delay_alu instid0(VALU_DEP_2)
	v_fmac_f16_e32 v2, v8, v12
	ds_load_2addr_b32 v[12:13], v98 offset0:64 offset1:160
	v_fma_f16 v26, v8, v5, -v7
	v_cvt_f32_f16_e32 v2, v2
	s_wait_dscnt 0x0
	v_lshrrev_b32_e32 v23, 16, v12
	v_mul_f16_e32 v5, v38, v12
	s_delay_alu instid0(VALU_DEP_1) | instskip(NEXT) | instid1(VALU_DEP_1)
	v_fma_f16 v5, v31, v23, -v5
	v_cvt_f32_f16_e32 v5, v5
	s_delay_alu instid0(VALU_DEP_1) | instskip(NEXT) | instid1(VALU_DEP_1)
	v_cvt_f64_f32_e32 v[7:8], v5
	v_mul_f64_e32 v[7:8], s[10:11], v[7:8]
	s_delay_alu instid0(VALU_DEP_1) | instskip(SKIP_1) | instid1(VALU_DEP_2)
	v_and_or_b32 v5, 0x1ff, v8, v7
	v_lshrrev_b32_e32 v7, 8, v8
	v_cmp_ne_u32_e32 vcc_lo, 0, v5
	s_wait_alu 0xfffd
	v_cndmask_b32_e64 v5, 0, 1, vcc_lo
	s_delay_alu instid0(VALU_DEP_1) | instskip(SKIP_1) | instid1(VALU_DEP_2)
	v_and_or_b32 v5, 0xffe, v7, v5
	v_bfe_u32 v7, v8, 20, 11
	v_or_b32_e32 v27, 0x1000, v5
	s_delay_alu instid0(VALU_DEP_2) | instskip(SKIP_1) | instid1(VALU_DEP_2)
	v_sub_nc_u32_e32 v19, 0x3f1, v7
	v_add_nc_u32_e32 v7, 0xfffffc10, v7
	v_med3_i32 v19, v19, 0, 13
	s_delay_alu instid0(VALU_DEP_1) | instskip(NEXT) | instid1(VALU_DEP_1)
	v_lshrrev_b32_e32 v22, v19, v27
	v_lshlrev_b32_e32 v19, v19, v22
	s_delay_alu instid0(VALU_DEP_1) | instskip(SKIP_1) | instid1(VALU_DEP_1)
	v_cmp_ne_u32_e32 vcc_lo, v19, v27
	v_cvt_f64_f32_e32 v[18:19], v18
	v_mul_f64_e32 v[18:19], s[10:11], v[18:19]
	s_delay_alu instid0(VALU_DEP_1) | instskip(SKIP_1) | instid1(VALU_DEP_2)
	v_and_or_b32 v18, 0x1ff, v19, v18
	v_lshrrev_b32_e32 v27, 8, v19
	v_cmp_ne_u32_e64 s1, 0, v18
	s_wait_alu 0xf1ff
	s_delay_alu instid0(VALU_DEP_1) | instskip(NEXT) | instid1(VALU_DEP_1)
	v_cndmask_b32_e64 v18, 0, 1, s1
	v_and_or_b32 v18, 0xffe, v27, v18
	v_bfe_u32 v27, v19, 20, 11
	v_lshrrev_b32_e32 v19, 16, v19
	s_delay_alu instid0(VALU_DEP_3) | instskip(NEXT) | instid1(VALU_DEP_3)
	v_or_b32_e32 v29, 0x1000, v18
	v_sub_nc_u32_e32 v28, 0x3f1, v27
	v_add_nc_u32_e32 v27, 0xfffffc10, v27
	v_cmp_ne_u32_e64 s3, 0, v18
	s_delay_alu instid0(VALU_DEP_3) | instskip(NEXT) | instid1(VALU_DEP_1)
	v_med3_i32 v28, v28, 0, 13
	v_lshrrev_b32_e32 v30, v28, v29
	s_delay_alu instid0(VALU_DEP_1) | instskip(NEXT) | instid1(VALU_DEP_1)
	v_lshlrev_b32_e32 v28, v28, v30
	v_cmp_ne_u32_e64 s1, v28, v29
	v_lshl_or_b32 v29, v27, 12, v18
	v_cndmask_b32_e64 v18, 0, 1, s0
	v_cmp_gt_i32_e64 s0, 1, v24
	s_wait_alu 0xf1ff
	v_cndmask_b32_e64 v28, 0, 1, s1
	v_cmp_gt_i32_e64 s1, 1, v27
	v_or_b32_e32 v18, v25, v18
	v_lshl_or_b32 v25, v24, 12, v10
	s_delay_alu instid0(VALU_DEP_4) | instskip(SKIP_4) | instid1(VALU_DEP_1)
	v_or_b32_e32 v28, v30, v28
	scratch_load_b32 v30, off, off offset:120 th:TH_LOAD_LU ; 4-byte Folded Reload
	v_cndmask_b32_e64 v18, v25, v18, s0
	s_wait_alu 0xf1ff
	v_cndmask_b32_e64 v28, v29, v28, s1
	v_and_b32_e32 v29, 7, v28
	v_lshrrev_b32_e32 v25, 2, v28
	v_cndmask_b32_e64 v28, 0, 1, s3
	s_delay_alu instid0(VALU_DEP_3) | instskip(SKIP_1) | instid1(VALU_DEP_3)
	v_cmp_lt_i32_e64 s1, 5, v29
	v_cmp_eq_u32_e64 s2, 3, v29
	v_lshl_or_b32 v28, v28, 9, 0x7c00
	s_delay_alu instid0(VALU_DEP_2)
	s_or_b32 s0, s2, s1
	v_cmp_ne_u32_e64 s2, 0, v10
	s_wait_alu 0xfffe
	v_add_co_ci_u32_e64 v25, s0, 0, v25, s0
	v_cmp_gt_i32_e64 s0, 31, v27
	v_lshrrev_b32_e32 v10, 2, v18
	s_wait_alu 0xf1ff
	s_delay_alu instid0(VALU_DEP_2) | instskip(SKIP_4) | instid1(VALU_DEP_3)
	v_cndmask_b32_e64 v25, 0x7c00, v25, s0
	v_cmp_eq_u32_e64 s0, 0x40f, v27
	v_and_b32_e32 v27, 7, v18
	v_cndmask_b32_e64 v18, 0, 1, s2
	s_wait_alu 0xf1ff
	v_cndmask_b32_e64 v25, v25, v28, s0
	s_delay_alu instid0(VALU_DEP_3)
	v_cmp_lt_i32_e64 s0, 5, v27
	v_cmp_eq_u32_e64 s1, 3, v27
	v_lshl_or_b32 v18, v18, 9, 0x7c00
	scratch_load_b32 v28, off, off offset:124 th:TH_LOAD_LU ; 4-byte Folded Reload
	s_or_b32 s0, s1, s0
	s_wait_alu 0xfffe
	v_add_co_ci_u32_e64 v10, s0, 0, v10, s0
	v_cmp_gt_i32_e64 s0, 31, v24
	s_wait_alu 0xf1ff
	s_delay_alu instid0(VALU_DEP_1) | instskip(SKIP_2) | instid1(VALU_DEP_1)
	v_cndmask_b32_e64 v10, 0x7c00, v10, s0
	v_cmp_eq_u32_e64 s0, 0x40f, v24
	s_wait_alu 0xf1ff
	v_cndmask_b32_e64 v10, v10, v18, s0
	v_and_or_b32 v18, 0x8000, v19, v25
	v_add_co_u32 v24, s0, v16, s12
	s_wait_alu 0xf1ff
	v_add_co_ci_u32_e64 v25, s0, s13, v17, s0
	v_and_or_b32 v10, 0x8000, v11, v10
	v_and_b32_e32 v11, 0xffff, v18
	scratch_load_b32 v18, off, off offset:128 th:TH_LOAD_LU ; 4-byte Folded Reload
	v_lshl_or_b32 v10, v10, 16, v11
	global_store_b32 v[16:17], v10, off
	v_cvt_f32_f16_e32 v10, v26
	s_delay_alu instid0(VALU_DEP_1) | instskip(NEXT) | instid1(VALU_DEP_1)
	v_cvt_f64_f32_e32 v[10:11], v10
	v_mul_f64_e32 v[26:27], s[10:11], v[10:11]
	s_delay_alu instid0(VALU_DEP_1) | instskip(SKIP_2) | instid1(VALU_DEP_3)
	v_and_or_b32 v10, 0x1ff, v27, v26
	v_lshrrev_b32_e32 v11, 8, v27
	v_bfe_u32 v32, v27, 20, 11
	v_cmp_ne_u32_e64 s0, 0, v10
	s_wait_alu 0xf1ff
	s_delay_alu instid0(VALU_DEP_1) | instskip(NEXT) | instid1(VALU_DEP_1)
	v_cndmask_b32_e64 v10, 0, 1, s0
	v_and_or_b32 v26, 0xffe, v11, v10
	v_sub_nc_u32_e32 v10, 0x3f1, v32
	s_delay_alu instid0(VALU_DEP_2) | instskip(NEXT) | instid1(VALU_DEP_2)
	v_or_b32_e32 v11, 0x1000, v26
	v_med3_i32 v10, v10, 0, 13
	s_delay_alu instid0(VALU_DEP_1) | instskip(NEXT) | instid1(VALU_DEP_1)
	v_lshrrev_b32_e32 v33, v10, v11
	v_lshlrev_b32_e32 v10, v10, v33
	s_delay_alu instid0(VALU_DEP_1)
	v_cmp_ne_u32_e64 s2, v10, v11
	ds_load_2addr_b32 v[10:11], v95 offset1:96
	s_wait_dscnt 0x0
	v_lshrrev_b32_e32 v16, 16, v10
	s_wait_loadcnt 0x0
	v_mul_f16_e32 v17, v18, v10
	s_delay_alu instid0(VALU_DEP_2) | instskip(NEXT) | instid1(VALU_DEP_2)
	v_mul_f16_e32 v18, v18, v16
	v_fma_f16 v19, v28, v16, -v17
	s_delay_alu instid0(VALU_DEP_2) | instskip(NEXT) | instid1(VALU_DEP_1)
	v_fmac_f16_e32 v18, v28, v10
	v_cvt_f32_f16_e32 v10, v18
	s_delay_alu instid0(VALU_DEP_1) | instskip(NEXT) | instid1(VALU_DEP_1)
	v_cvt_f64_f32_e32 v[16:17], v10
	v_mul_f64_e32 v[16:17], s[10:11], v[16:17]
	s_delay_alu instid0(VALU_DEP_1) | instskip(SKIP_2) | instid1(VALU_DEP_3)
	v_and_or_b32 v10, 0x1ff, v17, v16
	v_lshrrev_b32_e32 v16, 8, v17
	v_bfe_u32 v34, v17, 20, 11
	v_cmp_ne_u32_e64 s0, 0, v10
	s_wait_alu 0xf1ff
	s_delay_alu instid0(VALU_DEP_1) | instskip(NEXT) | instid1(VALU_DEP_1)
	v_cndmask_b32_e64 v10, 0, 1, s0
	v_and_or_b32 v16, 0xffe, v16, v10
	v_sub_nc_u32_e32 v10, 0x3f1, v34
	s_delay_alu instid0(VALU_DEP_2) | instskip(NEXT) | instid1(VALU_DEP_2)
	v_or_b32_e32 v18, 0x1000, v16
	v_med3_i32 v10, v10, 0, 13
	s_delay_alu instid0(VALU_DEP_1) | instskip(NEXT) | instid1(VALU_DEP_1)
	v_lshrrev_b32_e32 v35, v10, v18
	v_lshlrev_b32_e32 v10, v10, v35
	s_delay_alu instid0(VALU_DEP_1) | instskip(SKIP_1) | instid1(VALU_DEP_1)
	v_cmp_ne_u32_e64 s0, v10, v18
	v_cvt_f32_f16_e32 v10, v19
	v_cvt_f64_f32_e32 v[18:19], v10
	s_delay_alu instid0(VALU_DEP_1) | instskip(NEXT) | instid1(VALU_DEP_1)
	v_mul_f64_e32 v[18:19], s[10:11], v[18:19]
	v_and_or_b32 v10, 0x1ff, v19, v18
	v_lshrrev_b32_e32 v18, 8, v19
	v_bfe_u32 v36, v19, 20, 11
	s_delay_alu instid0(VALU_DEP_3) | instskip(SKIP_1) | instid1(VALU_DEP_1)
	v_cmp_ne_u32_e64 s1, 0, v10
	s_wait_alu 0xf1ff
	v_cndmask_b32_e64 v10, 0, 1, s1
	s_delay_alu instid0(VALU_DEP_1) | instskip(SKIP_1) | instid1(VALU_DEP_2)
	v_and_or_b32 v18, 0xffe, v18, v10
	v_sub_nc_u32_e32 v10, 0x3f1, v36
	v_or_b32_e32 v28, 0x1000, v18
	s_delay_alu instid0(VALU_DEP_2) | instskip(NEXT) | instid1(VALU_DEP_1)
	v_med3_i32 v10, v10, 0, 13
	v_lshrrev_b32_e32 v37, v10, v28
	s_delay_alu instid0(VALU_DEP_1) | instskip(NEXT) | instid1(VALU_DEP_1)
	v_lshlrev_b32_e32 v10, v10, v37
	v_cmp_ne_u32_e64 s1, v10, v28
	v_mad_co_u64_u32 v[28:29], null, s8, v30, 0
	s_delay_alu instid0(VALU_DEP_1) | instskip(NEXT) | instid1(VALU_DEP_1)
	v_mov_b32_e32 v10, v29
	v_mad_co_u64_u32 v[29:30], null, s9, v30, v[10:11]
	v_mul_f16_e32 v10, v38, v23
	s_delay_alu instid0(VALU_DEP_1) | instskip(NEXT) | instid1(VALU_DEP_1)
	v_fmac_f16_e32 v10, v31, v12
	v_cvt_f32_f16_e32 v10, v10
	s_delay_alu instid0(VALU_DEP_1) | instskip(NEXT) | instid1(VALU_DEP_1)
	v_cvt_f64_f32_e32 v[30:31], v10
	v_mul_f64_e32 v[30:31], s[10:11], v[30:31]
	s_delay_alu instid0(VALU_DEP_1) | instskip(SKIP_1) | instid1(VALU_DEP_2)
	v_and_or_b32 v10, 0x1ff, v31, v30
	v_lshrrev_b32_e32 v12, 8, v31
	v_cmp_ne_u32_e64 s3, 0, v10
	s_wait_alu 0xf1ff
	s_delay_alu instid0(VALU_DEP_1) | instskip(NEXT) | instid1(VALU_DEP_1)
	v_cndmask_b32_e64 v10, 0, 1, s3
	v_and_or_b32 v10, 0xffe, v12, v10
	v_bfe_u32 v12, v31, 20, 11
	s_delay_alu instid0(VALU_DEP_2) | instskip(NEXT) | instid1(VALU_DEP_2)
	v_or_b32_e32 v30, 0x1000, v10
	v_sub_nc_u32_e32 v23, 0x3f1, v12
	v_add_nc_u32_e32 v12, 0xfffffc10, v12
	v_cmp_ne_u32_e64 s5, 0, v10
	s_delay_alu instid0(VALU_DEP_3) | instskip(NEXT) | instid1(VALU_DEP_1)
	v_med3_i32 v23, v23, 0, 13
	v_lshrrev_b32_e32 v38, v23, v30
	s_delay_alu instid0(VALU_DEP_1) | instskip(NEXT) | instid1(VALU_DEP_1)
	v_lshlrev_b32_e32 v23, v23, v38
	v_cmp_ne_u32_e64 s3, v23, v30
	v_lshl_or_b32 v30, v12, 12, v10
	s_wait_alu 0xfffd
	v_cndmask_b32_e64 v10, 0, 1, vcc_lo
	v_cmp_gt_i32_e32 vcc_lo, 1, v7
	s_wait_alu 0xf1ff
	v_cndmask_b32_e64 v23, 0, 1, s3
	v_cmp_gt_i32_e64 s3, 1, v12
	v_or_b32_e32 v10, v22, v10
	v_lshl_or_b32 v22, v7, 12, v5
	s_delay_alu instid0(VALU_DEP_4) | instskip(SKIP_1) | instid1(VALU_DEP_2)
	v_or_b32_e32 v23, v38, v23
	s_wait_alu 0xfffd
	v_cndmask_b32_e32 v10, v22, v10, vcc_lo
	s_wait_alu 0xf1ff
	s_delay_alu instid0(VALU_DEP_2) | instskip(NEXT) | instid1(VALU_DEP_1)
	v_cndmask_b32_e64 v23, v30, v23, s3
	v_and_b32_e32 v30, 7, v23
	v_lshrrev_b32_e32 v22, 2, v23
	v_cndmask_b32_e64 v23, 0, 1, s5
	s_delay_alu instid0(VALU_DEP_3) | instskip(SKIP_1) | instid1(VALU_DEP_3)
	v_cmp_lt_i32_e64 s3, 5, v30
	v_cmp_eq_u32_e64 s4, 3, v30
	v_lshl_or_b32 v23, v23, 9, 0x7c00
	s_delay_alu instid0(VALU_DEP_2)
	s_or_b32 vcc_lo, s4, s3
	v_cmp_ne_u32_e64 s4, 0, v5
	s_wait_alu 0xfffe
	v_add_co_ci_u32_e32 v22, vcc_lo, 0, v22, vcc_lo
	v_cmp_gt_i32_e32 vcc_lo, 31, v12
	v_lshrrev_b32_e32 v5, 2, v10
	s_wait_alu 0xfffd
	s_delay_alu instid0(VALU_DEP_3) | instskip(SKIP_2) | instid1(VALU_DEP_2)
	v_cndmask_b32_e32 v22, 0x7c00, v22, vcc_lo
	v_cmp_eq_u32_e32 vcc_lo, 0x40f, v12
	s_wait_alu 0xfffd
	v_dual_cndmask_b32 v12, v22, v23 :: v_dual_and_b32 v23, 7, v10
	s_wait_alu 0xf1ff
	v_cndmask_b32_e64 v10, 0, 1, s4
	v_lshrrev_b32_e32 v22, 16, v31
	s_delay_alu instid0(VALU_DEP_3) | instskip(SKIP_1) | instid1(VALU_DEP_4)
	v_cmp_lt_i32_e32 vcc_lo, 5, v23
	v_cmp_eq_u32_e64 s3, 3, v23
	v_lshl_or_b32 v10, v10, 9, 0x7c00
	s_delay_alu instid0(VALU_DEP_2) | instskip(SKIP_4) | instid1(VALU_DEP_2)
	s_or_b32 vcc_lo, s3, vcc_lo
	s_wait_alu 0xfffe
	v_add_co_ci_u32_e32 v5, vcc_lo, 0, v5, vcc_lo
	v_cmp_gt_i32_e32 vcc_lo, 31, v7
	s_wait_alu 0xfffd
	v_cndmask_b32_e32 v5, 0x7c00, v5, vcc_lo
	v_cmp_eq_u32_e32 vcc_lo, 0x40f, v7
	v_lshrrev_b32_e32 v7, 16, v8
	v_and_or_b32 v8, 0x8000, v22, v12
	v_lshlrev_b64_e32 v[22:23], 2, v[28:29]
	s_wait_alu 0xfffd
	v_cndmask_b32_e32 v5, v5, v10, vcc_lo
	s_delay_alu instid0(VALU_DEP_1) | instskip(SKIP_1) | instid1(VALU_DEP_1)
	v_and_or_b32 v5, 0x8000, v7, v5
	v_and_b32_e32 v7, 0xffff, v8
	v_lshl_or_b32 v5, v5, 16, v7
	v_add_co_u32 v7, vcc_lo, v24, s12
	s_wait_alu 0xfffd
	v_add_co_ci_u32_e32 v8, vcc_lo, s13, v25, vcc_lo
	global_store_b32 v[24:25], v5, off
	v_cvt_f64_f32_e32 v[24:25], v2
	v_add_co_u32 v22, vcc_lo, v21, v22
	s_wait_alu 0xfffd
	v_add_co_ci_u32_e32 v23, vcc_lo, v20, v23, vcc_lo
	s_delay_alu instid0(VALU_DEP_3) | instskip(NEXT) | instid1(VALU_DEP_1)
	v_mul_f64_e32 v[24:25], s[10:11], v[24:25]
	v_and_or_b32 v2, 0x1ff, v25, v24
	v_lshrrev_b32_e32 v5, 8, v25
	s_delay_alu instid0(VALU_DEP_2) | instskip(SKIP_2) | instid1(VALU_DEP_1)
	v_cmp_ne_u32_e32 vcc_lo, 0, v2
	s_wait_alu 0xfffd
	v_cndmask_b32_e64 v2, 0, 1, vcc_lo
	v_and_or_b32 v2, 0xffe, v5, v2
	v_bfe_u32 v5, v25, 20, 11
	s_delay_alu instid0(VALU_DEP_2) | instskip(NEXT) | instid1(VALU_DEP_2)
	v_or_b32_e32 v12, 0x1000, v2
	v_sub_nc_u32_e32 v10, 0x3f1, v5
	v_add_nc_u32_e32 v5, 0xfffffc10, v5
	s_delay_alu instid0(VALU_DEP_2) | instskip(NEXT) | instid1(VALU_DEP_1)
	v_med3_i32 v10, v10, 0, 13
	v_lshrrev_b32_e32 v24, v10, v12
	s_delay_alu instid0(VALU_DEP_1) | instskip(NEXT) | instid1(VALU_DEP_1)
	v_lshlrev_b32_e32 v10, v10, v24
	v_cmp_ne_u32_e32 vcc_lo, v10, v12
	v_lshl_or_b32 v12, v5, 12, v2
	s_wait_alu 0xfffd
	v_cndmask_b32_e64 v10, 0, 1, vcc_lo
	v_cmp_gt_i32_e32 vcc_lo, 1, v5
	s_delay_alu instid0(VALU_DEP_2) | instskip(SKIP_1) | instid1(VALU_DEP_1)
	v_or_b32_e32 v10, v24, v10
	s_wait_alu 0xfffd
	v_cndmask_b32_e32 v10, v12, v10, vcc_lo
	s_delay_alu instid0(VALU_DEP_1) | instskip(SKIP_1) | instid1(VALU_DEP_2)
	v_and_b32_e32 v12, 7, v10
	v_lshrrev_b32_e32 v10, 2, v10
	v_cmp_lt_i32_e32 vcc_lo, 5, v12
	v_cmp_eq_u32_e64 s3, 3, v12
	v_cndmask_b32_e64 v12, 0, 1, s2
	v_cmp_ne_u32_e64 s2, 0, v2
	v_add_nc_u32_e32 v2, 0xfffffc10, v32
	s_delay_alu instid0(VALU_DEP_4) | instskip(NEXT) | instid1(VALU_DEP_3)
	s_or_b32 vcc_lo, s3, vcc_lo
	v_or_b32_e32 v12, v33, v12
	s_wait_alu 0xfffe
	v_add_co_ci_u32_e32 v10, vcc_lo, 0, v10, vcc_lo
	v_lshl_or_b32 v24, v2, 12, v26
	v_cmp_gt_i32_e64 s4, 1, v2
	v_cmp_gt_i32_e32 vcc_lo, 31, v5
	v_cmp_ne_u32_e64 s3, 0, v26
	s_wait_alu 0xf1ff
	s_delay_alu instid0(VALU_DEP_3)
	v_cndmask_b32_e64 v12, v24, v12, s4
	v_cndmask_b32_e64 v24, 0, 1, s2
	s_wait_alu 0xfffd
	v_cndmask_b32_e32 v10, 0x7c00, v10, vcc_lo
	v_cmp_eq_u32_e32 vcc_lo, 0x40f, v5
	v_cmp_ne_u32_e64 s4, 0, v18
	v_lshl_or_b32 v24, v24, 9, 0x7c00
	s_wait_alu 0xfffd
	s_delay_alu instid0(VALU_DEP_1) | instskip(SKIP_3) | instid1(VALU_DEP_3)
	v_cndmask_b32_e32 v5, v10, v24, vcc_lo
	v_and_b32_e32 v24, 7, v12
	v_lshrrev_b32_e32 v10, 16, v25
	v_add_nc_u32_e32 v25, 0xfffffc10, v36
	v_cmp_lt_i32_e32 vcc_lo, 5, v24
	v_cmp_eq_u32_e64 s2, 3, v24
	s_delay_alu instid0(VALU_DEP_4)
	v_and_or_b32 v5, 0x8000, v10, v5
	v_lshrrev_b32_e32 v10, 2, v12
	v_cndmask_b32_e64 v12, 0, 1, s3
	v_lshl_or_b32 v26, v25, 12, v18
	s_or_b32 vcc_lo, s2, vcc_lo
	v_cmp_ne_u32_e64 s3, 0, v16
	s_wait_alu 0xfffe
	v_add_co_ci_u32_e32 v10, vcc_lo, 0, v10, vcc_lo
	v_cmp_gt_i32_e32 vcc_lo, 31, v2
	v_lshl_or_b32 v12, v12, 9, 0x7c00
	v_and_b32_e32 v5, 0xffff, v5
	s_wait_alu 0xfffd
	v_cndmask_b32_e32 v10, 0x7c00, v10, vcc_lo
	v_cmp_eq_u32_e32 vcc_lo, 0x40f, v2
	s_wait_alu 0xfffd
	s_delay_alu instid0(VALU_DEP_2) | instskip(SKIP_2) | instid1(VALU_DEP_2)
	v_cndmask_b32_e32 v2, v10, v12, vcc_lo
	v_lshrrev_b32_e32 v10, 16, v27
	v_cndmask_b32_e64 v12, 0, 1, s0
	v_and_or_b32 v2, 0x8000, v10, v2
	v_add_nc_u32_e32 v10, 0xfffffc10, v34
	s_delay_alu instid0(VALU_DEP_3) | instskip(NEXT) | instid1(VALU_DEP_3)
	v_or_b32_e32 v12, v35, v12
	v_lshl_or_b32 v2, v2, 16, v5
	s_delay_alu instid0(VALU_DEP_3)
	v_lshl_or_b32 v24, v10, 12, v16
	v_cmp_gt_i32_e32 vcc_lo, 1, v10
	s_wait_alu 0xf1ff
	v_cndmask_b32_e64 v16, 0, 1, s3
	s_wait_alu 0xfffd
	v_cndmask_b32_e32 v12, v24, v12, vcc_lo
	v_cndmask_b32_e64 v24, 0, 1, s1
	v_cmp_gt_i32_e32 vcc_lo, 1, v25
	v_lshl_or_b32 v16, v16, 9, 0x7c00
	s_delay_alu instid0(VALU_DEP_3) | instskip(SKIP_1) | instid1(VALU_DEP_1)
	v_or_b32_e32 v24, v37, v24
	s_wait_alu 0xfffd
	v_cndmask_b32_e32 v24, v26, v24, vcc_lo
	v_and_b32_e32 v26, 7, v12
	v_lshrrev_b32_e32 v12, 2, v12
	s_delay_alu instid0(VALU_DEP_2) | instskip(SKIP_2) | instid1(VALU_DEP_2)
	v_cmp_lt_i32_e32 vcc_lo, 5, v26
	v_cmp_eq_u32_e64 s0, 3, v26
	v_and_b32_e32 v26, 7, v24
	s_or_b32 vcc_lo, s0, vcc_lo
	s_delay_alu instid0(VALU_DEP_1)
	v_cmp_lt_i32_e64 s1, 5, v26
	s_wait_alu 0xfffe
	v_add_co_ci_u32_e32 v12, vcc_lo, 0, v12, vcc_lo
	v_cmp_gt_i32_e32 vcc_lo, 31, v10
	v_cmp_eq_u32_e64 s2, 3, v26
	s_wait_alu 0xfffd
	s_delay_alu instid0(VALU_DEP_3) | instskip(SKIP_2) | instid1(VALU_DEP_2)
	v_cndmask_b32_e32 v12, 0x7c00, v12, vcc_lo
	v_cmp_eq_u32_e32 vcc_lo, 0x40f, v10
	s_wait_alu 0xfffd
	v_cndmask_b32_e32 v10, v12, v16, vcc_lo
	v_lshrrev_b32_e32 v16, 2, v24
	s_or_b32 vcc_lo, s2, s1
	v_lshrrev_b32_e32 v12, 16, v17
	v_cndmask_b32_e64 v17, 0, 1, s4
	s_wait_alu 0xfffe
	v_add_co_ci_u32_e32 v16, vcc_lo, 0, v16, vcc_lo
	v_cmp_gt_i32_e32 vcc_lo, 31, v25
	s_delay_alu instid0(VALU_DEP_3) | instskip(SKIP_4) | instid1(VALU_DEP_3)
	v_lshl_or_b32 v17, v17, 9, 0x7c00
	v_and_or_b32 v10, 0x8000, v12, v10
	s_wait_alu 0xfffd
	v_cndmask_b32_e32 v16, 0x7c00, v16, vcc_lo
	v_cmp_eq_u32_e32 vcc_lo, 0x40f, v25
	v_and_b32_e32 v10, 0xffff, v10
	s_wait_alu 0xfffd
	s_delay_alu instid0(VALU_DEP_3) | instskip(SKIP_1) | instid1(VALU_DEP_1)
	v_cndmask_b32_e32 v16, v16, v17, vcc_lo
	v_lshrrev_b32_e32 v17, 16, v19
	v_and_or_b32 v5, 0x8000, v17, v16
	s_delay_alu instid0(VALU_DEP_1)
	v_lshl_or_b32 v5, v5, 16, v10
	global_store_b32 v[7:8], v2, off
	global_store_b32 v[22:23], v5, off
	s_clause 0x4
	scratch_load_b32 v10, off, off offset:100 th:TH_LOAD_LU
	scratch_load_b32 v38, off, off offset:104 th:TH_LOAD_LU
	scratch_load_b32 v12, off, off offset:96 th:TH_LOAD_LU
	scratch_load_b32 v16, off, off offset:112 th:TH_LOAD_LU
	scratch_load_b32 v39, off, off offset:108 th:TH_LOAD_LU
	v_lshrrev_b32_e32 v2, 16, v9
	v_add_co_u32 v7, s1, v7, s14
	s_wait_alu 0xf1ff
	v_add_co_ci_u32_e64 v8, s1, s15, v8, s1
	s_wait_loadcnt 0x4
	v_mul_f16_e32 v5, v10, v2
	v_mul_f16_e32 v10, v10, v9
	s_wait_loadcnt 0x2
	s_delay_alu instid0(VALU_DEP_2) | instskip(NEXT) | instid1(VALU_DEP_2)
	v_fmac_f16_e32 v5, v12, v9
	v_fma_f16 v2, v12, v2, -v10
	s_delay_alu instid0(VALU_DEP_2) | instskip(NEXT) | instid1(VALU_DEP_2)
	v_cvt_f32_f16_e32 v5, v5
	v_cvt_f32_f16_e32 v2, v2
	s_delay_alu instid0(VALU_DEP_1) | instskip(NEXT) | instid1(VALU_DEP_1)
	v_cvt_f64_f32_e32 v[9:10], v2
	v_mul_f64_e32 v[17:18], s[10:11], v[9:10]
	scratch_load_b32 v10, off, off offset:116 th:TH_LOAD_LU ; 4-byte Folded Reload
	v_and_or_b32 v2, 0x1ff, v18, v17
	v_lshrrev_b32_e32 v9, 8, v18
	v_bfe_u32 v19, v18, 20, 11
	s_delay_alu instid0(VALU_DEP_3) | instskip(SKIP_2) | instid1(VALU_DEP_1)
	v_cmp_ne_u32_e32 vcc_lo, 0, v2
	s_wait_alu 0xfffd
	v_cndmask_b32_e64 v2, 0, 1, vcc_lo
	v_and_or_b32 v12, 0xffe, v9, v2
	v_sub_nc_u32_e32 v2, 0x3f1, v19
	v_add_nc_u32_e32 v19, 0xfffffc10, v19
	s_delay_alu instid0(VALU_DEP_3) | instskip(NEXT) | instid1(VALU_DEP_3)
	v_or_b32_e32 v9, 0x1000, v12
	v_med3_i32 v2, v2, 0, 13
	v_cmp_ne_u32_e64 s5, 0, v12
	s_delay_alu instid0(VALU_DEP_2) | instskip(NEXT) | instid1(VALU_DEP_1)
	v_lshrrev_b32_e32 v22, v2, v9
	v_lshlrev_b32_e32 v2, v2, v22
	s_delay_alu instid0(VALU_DEP_1) | instskip(SKIP_2) | instid1(VALU_DEP_1)
	v_cmp_ne_u32_e32 vcc_lo, v2, v9
	v_lshrrev_b32_e32 v9, 16, v15
	s_wait_loadcnt 0x0
	v_mul_f16_e32 v2, v10, v9
	v_mul_f16_e32 v10, v10, v15
	s_delay_alu instid0(VALU_DEP_2) | instskip(NEXT) | instid1(VALU_DEP_2)
	v_fmac_f16_e32 v2, v16, v15
	v_fma_f16 v24, v16, v9, -v10
	ds_load_2addr_b32 v[9:10], v87 offset0:64 offset1:160
	v_cvt_f32_f16_e32 v2, v2
	s_wait_dscnt 0x0
	v_lshrrev_b32_e32 v29, 16, v9
	v_mul_f16_e32 v15, v39, v9
	s_delay_alu instid0(VALU_DEP_1) | instskip(NEXT) | instid1(VALU_DEP_1)
	v_fma_f16 v15, v38, v29, -v15
	v_cvt_f32_f16_e32 v15, v15
	s_delay_alu instid0(VALU_DEP_1) | instskip(NEXT) | instid1(VALU_DEP_1)
	v_cvt_f64_f32_e32 v[15:16], v15
	v_mul_f64_e32 v[16:17], s[10:11], v[15:16]
	s_delay_alu instid0(VALU_DEP_1) | instskip(SKIP_3) | instid1(VALU_DEP_4)
	v_and_or_b32 v15, 0x1ff, v17, v16
	v_lshrrev_b32_e32 v16, 8, v17
	v_bfe_u32 v31, v17, 20, 11
	v_lshrrev_b32_e32 v17, 16, v17
	v_cmp_ne_u32_e64 s0, 0, v15
	s_wait_alu 0xf1ff
	s_delay_alu instid0(VALU_DEP_1) | instskip(NEXT) | instid1(VALU_DEP_1)
	v_cndmask_b32_e64 v15, 0, 1, s0
	v_and_or_b32 v30, 0xffe, v16, v15
	v_sub_nc_u32_e32 v15, 0x3f1, v31
	s_delay_alu instid0(VALU_DEP_2) | instskip(NEXT) | instid1(VALU_DEP_2)
	v_or_b32_e32 v16, 0x1000, v30
	v_med3_i32 v15, v15, 0, 13
	s_delay_alu instid0(VALU_DEP_1) | instskip(NEXT) | instid1(VALU_DEP_1)
	v_lshrrev_b32_e32 v32, v15, v16
	v_lshlrev_b32_e32 v15, v15, v32
	s_delay_alu instid0(VALU_DEP_1) | instskip(SKIP_1) | instid1(VALU_DEP_1)
	v_cmp_ne_u32_e64 s0, v15, v16
	v_cvt_f64_f32_e32 v[15:16], v5
	v_mul_f64_e32 v[15:16], s[10:11], v[15:16]
	s_delay_alu instid0(VALU_DEP_1) | instskip(SKIP_1) | instid1(VALU_DEP_2)
	v_and_or_b32 v5, 0x1ff, v16, v15
	v_lshrrev_b32_e32 v15, 8, v16
	v_cmp_ne_u32_e64 s1, 0, v5
	s_wait_alu 0xf1ff
	s_delay_alu instid0(VALU_DEP_1) | instskip(NEXT) | instid1(VALU_DEP_1)
	v_cndmask_b32_e64 v5, 0, 1, s1
	v_and_or_b32 v5, 0xffe, v15, v5
	v_bfe_u32 v15, v16, 20, 11
	s_delay_alu instid0(VALU_DEP_2) | instskip(NEXT) | instid1(VALU_DEP_2)
	v_or_b32_e32 v25, 0x1000, v5
	v_sub_nc_u32_e32 v23, 0x3f1, v15
	v_add_nc_u32_e32 v15, 0xfffffc10, v15
	v_cmp_ne_u32_e64 s2, 0, v5
	s_delay_alu instid0(VALU_DEP_3) | instskip(NEXT) | instid1(VALU_DEP_1)
	v_med3_i32 v23, v23, 0, 13
	v_lshrrev_b32_e32 v26, v23, v25
	s_delay_alu instid0(VALU_DEP_1) | instskip(NEXT) | instid1(VALU_DEP_1)
	v_lshlrev_b32_e32 v23, v23, v26
	v_cmp_ne_u32_e64 s1, v23, v25
	v_lshl_or_b32 v25, v15, 12, v5
	s_wait_alu 0xf1ff
	s_delay_alu instid0(VALU_DEP_2) | instskip(SKIP_1) | instid1(VALU_DEP_2)
	v_cndmask_b32_e64 v23, 0, 1, s1
	v_cmp_gt_i32_e64 s1, 1, v15
	v_or_b32_e32 v23, v26, v23
	s_wait_alu 0xf1ff
	s_delay_alu instid0(VALU_DEP_1) | instskip(SKIP_3) | instid1(VALU_DEP_2)
	v_cndmask_b32_e64 v23, v25, v23, s1
	s_wait_alu 0xfffd
	v_cndmask_b32_e64 v25, 0, 1, vcc_lo
	v_cmp_gt_i32_e32 vcc_lo, 1, v19
	v_or_b32_e32 v22, v22, v25
	v_lshl_or_b32 v25, v19, 12, v12
	v_cndmask_b32_e64 v12, 0, 1, s2
	s_wait_alu 0xfffd
	s_delay_alu instid0(VALU_DEP_2) | instskip(NEXT) | instid1(VALU_DEP_2)
	v_dual_cndmask_b32 v22, v25, v22 :: v_dual_and_b32 v25, 7, v23
	v_lshl_or_b32 v12, v12, 9, 0x7c00
	s_delay_alu instid0(VALU_DEP_2) | instskip(NEXT) | instid1(VALU_DEP_3)
	v_and_b32_e32 v5, 7, v22
	v_cmp_lt_i32_e32 vcc_lo, 5, v25
	v_cmp_eq_u32_e64 s1, 3, v25
	scratch_load_b32 v25, off, off offset:88 th:TH_LOAD_LU ; 4-byte Folded Reload
	v_cmp_lt_i32_e64 s3, 5, v5
	v_cmp_eq_u32_e64 s4, 3, v5
	v_lshrrev_b32_e32 v5, 2, v23
	s_or_b32 vcc_lo, s1, vcc_lo
	s_wait_alu 0xfffe
	s_delay_alu instid0(VALU_DEP_1) | instskip(SKIP_2) | instid1(VALU_DEP_2)
	v_add_co_ci_u32_e32 v5, vcc_lo, 0, v5, vcc_lo
	v_cmp_gt_i32_e32 vcc_lo, 31, v15
	s_wait_alu 0xfffd
	v_cndmask_b32_e32 v5, 0x7c00, v5, vcc_lo
	v_cmp_eq_u32_e32 vcc_lo, 0x40f, v15
	v_lshrrev_b32_e32 v15, 2, v22
	s_wait_alu 0xfffd
	s_delay_alu instid0(VALU_DEP_3)
	v_cndmask_b32_e32 v5, v5, v12, vcc_lo
	s_or_b32 vcc_lo, s4, s3
	v_lshrrev_b32_e32 v12, 16, v16
	s_wait_alu 0xfffe
	v_add_co_ci_u32_e32 v15, vcc_lo, 0, v15, vcc_lo
	v_cmp_gt_i32_e32 vcc_lo, 31, v19
	v_cndmask_b32_e64 v16, 0, 1, s5
	v_and_or_b32 v5, 0x8000, v12, v5
	s_wait_alu 0xfffd
	v_cndmask_b32_e32 v15, 0x7c00, v15, vcc_lo
	s_delay_alu instid0(VALU_DEP_3) | instskip(SKIP_3) | instid1(VALU_DEP_3)
	v_lshl_or_b32 v16, v16, 9, 0x7c00
	v_cmp_eq_u32_e32 vcc_lo, 0x40f, v19
	v_and_b32_e32 v5, 0xffff, v5
	s_wait_alu 0xfffd
	v_cndmask_b32_e32 v15, v15, v16, vcc_lo
	v_lshrrev_b32_e32 v16, 16, v18
	v_add_co_u32 v22, vcc_lo, v7, s12
	s_wait_alu 0xfffd
	v_add_co_ci_u32_e32 v23, vcc_lo, s13, v8, vcc_lo
	s_delay_alu instid0(VALU_DEP_3) | instskip(NEXT) | instid1(VALU_DEP_1)
	v_and_or_b32 v12, 0x8000, v16, v15
	v_lshl_or_b32 v5, v12, 16, v5
	global_store_b32 v[7:8], v5, off
	v_cvt_f32_f16_e32 v5, v24
	s_delay_alu instid0(VALU_DEP_1) | instskip(NEXT) | instid1(VALU_DEP_1)
	v_cvt_f64_f32_e32 v[7:8], v5
	v_mul_f64_e32 v[18:19], s[10:11], v[7:8]
	s_delay_alu instid0(VALU_DEP_1)
	v_and_or_b32 v5, 0x1ff, v19, v18
	scratch_load_b32 v18, off, off offset:92 th:TH_LOAD_LU ; 4-byte Folded Reload
	v_lshrrev_b32_e32 v7, 8, v19
	v_bfe_u32 v12, v19, 20, 11
	v_cmp_ne_u32_e32 vcc_lo, 0, v5
	s_wait_alu 0xfffd
	v_cndmask_b32_e64 v5, 0, 1, vcc_lo
	s_delay_alu instid0(VALU_DEP_1) | instskip(SKIP_1) | instid1(VALU_DEP_2)
	v_and_or_b32 v5, 0xffe, v7, v5
	v_sub_nc_u32_e32 v7, 0x3f1, v12
	v_or_b32_e32 v8, 0x1000, v5
	s_delay_alu instid0(VALU_DEP_2) | instskip(NEXT) | instid1(VALU_DEP_1)
	v_med3_i32 v7, v7, 0, 13
	v_lshrrev_b32_e32 v33, v7, v8
	s_delay_alu instid0(VALU_DEP_1) | instskip(NEXT) | instid1(VALU_DEP_1)
	v_lshlrev_b32_e32 v7, v7, v33
	v_cmp_ne_u32_e32 vcc_lo, v7, v8
	ds_load_2addr_b32 v[7:8], v85 offset0:128 offset1:224
	s_wait_dscnt 0x0
	v_lshrrev_b32_e32 v15, 16, v7
	s_wait_loadcnt 0x0
	v_mul_f16_e32 v16, v18, v7
	s_delay_alu instid0(VALU_DEP_2) | instskip(NEXT) | instid1(VALU_DEP_2)
	v_mul_f16_e32 v18, v18, v15
	v_fma_f16 v24, v25, v15, -v16
	s_delay_alu instid0(VALU_DEP_2) | instskip(NEXT) | instid1(VALU_DEP_1)
	v_fmac_f16_e32 v18, v25, v7
	v_cvt_f32_f16_e32 v7, v18
	s_delay_alu instid0(VALU_DEP_1) | instskip(NEXT) | instid1(VALU_DEP_1)
	v_cvt_f64_f32_e32 v[15:16], v7
	v_mul_f64_e32 v[15:16], s[10:11], v[15:16]
	s_delay_alu instid0(VALU_DEP_1) | instskip(SKIP_2) | instid1(VALU_DEP_3)
	v_and_or_b32 v7, 0x1ff, v16, v15
	v_lshrrev_b32_e32 v15, 8, v16
	v_bfe_u32 v34, v16, 20, 11
	v_cmp_ne_u32_e64 s1, 0, v7
	s_wait_alu 0xf1ff
	s_delay_alu instid0(VALU_DEP_1) | instskip(NEXT) | instid1(VALU_DEP_1)
	v_cndmask_b32_e64 v7, 0, 1, s1
	v_and_or_b32 v15, 0xffe, v15, v7
	v_sub_nc_u32_e32 v7, 0x3f1, v34
	s_delay_alu instid0(VALU_DEP_2) | instskip(NEXT) | instid1(VALU_DEP_2)
	v_or_b32_e32 v18, 0x1000, v15
	v_med3_i32 v7, v7, 0, 13
	s_delay_alu instid0(VALU_DEP_1) | instskip(NEXT) | instid1(VALU_DEP_1)
	v_lshrrev_b32_e32 v35, v7, v18
	v_lshlrev_b32_e32 v7, v7, v35
	s_delay_alu instid0(VALU_DEP_1) | instskip(SKIP_1) | instid1(VALU_DEP_1)
	v_cmp_ne_u32_e64 s1, v7, v18
	v_cvt_f32_f16_e32 v7, v24
	v_cvt_f64_f32_e32 v[24:25], v7
	s_delay_alu instid0(VALU_DEP_1) | instskip(NEXT) | instid1(VALU_DEP_1)
	v_mul_f64_e32 v[24:25], s[10:11], v[24:25]
	v_and_or_b32 v7, 0x1ff, v25, v24
	v_lshrrev_b32_e32 v18, 8, v25
	v_bfe_u32 v36, v25, 20, 11
	s_delay_alu instid0(VALU_DEP_3) | instskip(SKIP_1) | instid1(VALU_DEP_1)
	v_cmp_ne_u32_e64 s2, 0, v7
	s_wait_alu 0xf1ff
	v_cndmask_b32_e64 v7, 0, 1, s2
	s_delay_alu instid0(VALU_DEP_1) | instskip(SKIP_1) | instid1(VALU_DEP_2)
	v_and_or_b32 v24, 0xffe, v18, v7
	v_sub_nc_u32_e32 v7, 0x3f1, v36
	v_or_b32_e32 v18, 0x1000, v24
	s_delay_alu instid0(VALU_DEP_2) | instskip(NEXT) | instid1(VALU_DEP_1)
	v_med3_i32 v7, v7, 0, 13
	v_lshrrev_b32_e32 v37, v7, v18
	s_delay_alu instid0(VALU_DEP_1) | instskip(NEXT) | instid1(VALU_DEP_1)
	v_lshlrev_b32_e32 v7, v7, v37
	v_cmp_ne_u32_e64 s2, v7, v18
	scratch_load_b32 v18, off, off offset:68 th:TH_LOAD_LU ; 4-byte Folded Reload
	s_wait_loadcnt 0x0
	v_mad_co_u64_u32 v[26:27], null, s8, v18, 0
	s_delay_alu instid0(VALU_DEP_1) | instskip(NEXT) | instid1(VALU_DEP_1)
	v_mov_b32_e32 v7, v27
	v_mad_co_u64_u32 v[27:28], null, s9, v18, v[7:8]
	v_mul_f16_e32 v7, v39, v29
	s_delay_alu instid0(VALU_DEP_1) | instskip(NEXT) | instid1(VALU_DEP_1)
	v_fmac_f16_e32 v7, v38, v9
	v_cvt_f32_f16_e32 v7, v7
	s_delay_alu instid0(VALU_DEP_1) | instskip(NEXT) | instid1(VALU_DEP_1)
	v_cvt_f64_f32_e32 v[28:29], v7
	v_mul_f64_e32 v[28:29], s[10:11], v[28:29]
	s_delay_alu instid0(VALU_DEP_1) | instskip(SKIP_1) | instid1(VALU_DEP_2)
	v_and_or_b32 v7, 0x1ff, v29, v28
	v_lshrrev_b32_e32 v9, 8, v29
	v_cmp_ne_u32_e64 s3, 0, v7
	s_wait_alu 0xf1ff
	s_delay_alu instid0(VALU_DEP_1) | instskip(NEXT) | instid1(VALU_DEP_1)
	v_cndmask_b32_e64 v7, 0, 1, s3
	v_and_or_b32 v7, 0xffe, v9, v7
	v_bfe_u32 v9, v29, 20, 11
	s_delay_alu instid0(VALU_DEP_2) | instskip(NEXT) | instid1(VALU_DEP_2)
	v_or_b32_e32 v28, 0x1000, v7
	v_sub_nc_u32_e32 v18, 0x3f1, v9
	v_add_nc_u32_e32 v9, 0xfffffc10, v9
	v_cmp_ne_u32_e64 s5, 0, v7
	s_delay_alu instid0(VALU_DEP_3) | instskip(NEXT) | instid1(VALU_DEP_1)
	v_med3_i32 v18, v18, 0, 13
	v_lshrrev_b32_e32 v38, v18, v28
	s_delay_alu instid0(VALU_DEP_1) | instskip(NEXT) | instid1(VALU_DEP_1)
	v_lshlrev_b32_e32 v18, v18, v38
	v_cmp_ne_u32_e64 s3, v18, v28
	v_lshl_or_b32 v28, v9, 12, v7
	v_cndmask_b32_e64 v7, 0, 1, s0
	s_wait_alu 0xf1ff
	s_delay_alu instid0(VALU_DEP_3) | instskip(SKIP_1) | instid1(VALU_DEP_3)
	v_cndmask_b32_e64 v18, 0, 1, s3
	v_cmp_gt_i32_e64 s3, 1, v9
	v_or_b32_e32 v7, v32, v7
	s_delay_alu instid0(VALU_DEP_3) | instskip(SKIP_1) | instid1(VALU_DEP_1)
	v_or_b32_e32 v18, v38, v18
	s_wait_alu 0xf1ff
	v_cndmask_b32_e64 v18, v28, v18, s3
	s_delay_alu instid0(VALU_DEP_1) | instskip(SKIP_1) | instid1(VALU_DEP_2)
	v_and_b32_e32 v28, 7, v18
	v_lshrrev_b32_e32 v18, 2, v18
	v_cmp_lt_i32_e64 s3, 5, v28
	v_cmp_eq_u32_e64 s4, 3, v28
	v_add_nc_u32_e32 v28, 0xfffffc10, v31
	s_delay_alu instid0(VALU_DEP_1) | instskip(SKIP_2) | instid1(VALU_DEP_1)
	v_lshl_or_b32 v31, v28, 12, v30
	v_cmp_gt_i32_e64 s0, 1, v28
	s_wait_alu 0xf1ff
	v_cndmask_b32_e64 v7, v31, v7, s0
	s_or_b32 s0, s4, s3
	v_cndmask_b32_e64 v31, 0, 1, s5
	s_wait_alu 0xfffe
	v_add_co_ci_u32_e64 v18, s0, 0, v18, s0
	v_cmp_gt_i32_e64 s0, 31, v9
	v_cmp_ne_u32_e64 s4, 0, v30
	v_lshl_or_b32 v31, v31, 9, 0x7c00
	s_wait_alu 0xf1ff
	s_delay_alu instid0(VALU_DEP_3) | instskip(SKIP_2) | instid1(VALU_DEP_1)
	v_cndmask_b32_e64 v18, 0x7c00, v18, s0
	v_cmp_eq_u32_e64 s0, 0x40f, v9
	s_wait_alu 0xf1ff
	v_cndmask_b32_e64 v9, v18, v31, s0
	v_lshrrev_b32_e32 v18, 16, v29
	v_and_b32_e32 v29, 7, v7
	v_lshrrev_b32_e32 v7, 2, v7
	s_delay_alu instid0(VALU_DEP_3) | instskip(NEXT) | instid1(VALU_DEP_3)
	v_and_or_b32 v9, 0x8000, v18, v9
	v_cmp_lt_i32_e64 s0, 5, v29
	v_cmp_eq_u32_e64 s3, 3, v29
	v_cndmask_b32_e64 v29, 0, 1, s4
	s_delay_alu instid0(VALU_DEP_4) | instskip(NEXT) | instid1(VALU_DEP_3)
	v_and_b32_e32 v9, 0xffff, v9
	s_or_b32 s0, s3, s0
	s_delay_alu instid0(VALU_DEP_2) | instskip(SKIP_4) | instid1(VALU_DEP_1)
	v_lshl_or_b32 v29, v29, 9, 0x7c00
	s_wait_alu 0xfffe
	v_add_co_ci_u32_e64 v7, s0, 0, v7, s0
	v_cmp_gt_i32_e64 s0, 31, v28
	s_wait_alu 0xf1ff
	v_cndmask_b32_e64 v7, 0x7c00, v7, s0
	v_cmp_eq_u32_e64 s0, 0x40f, v28
	s_wait_alu 0xf1ff
	s_delay_alu instid0(VALU_DEP_1) | instskip(SKIP_1) | instid1(VALU_DEP_2)
	v_cndmask_b32_e64 v7, v7, v29, s0
	v_lshrrev_b32_e32 v29, 16, v13
	v_and_or_b32 v7, 0x8000, v17, v7
	v_add_co_u32 v17, s0, v22, s12
	s_wait_alu 0xf1ff
	v_add_co_ci_u32_e64 v18, s0, s13, v23, s0
	s_delay_alu instid0(VALU_DEP_3) | instskip(SKIP_3) | instid1(VALU_DEP_2)
	v_lshl_or_b32 v7, v7, 16, v9
	global_store_b32 v[22:23], v7, off
	v_lshlrev_b64_e32 v[22:23], 2, v[26:27]
	v_cvt_f64_f32_e32 v[26:27], v2
	v_add_co_u32 v22, s0, v21, v22
	s_wait_alu 0xf1ff
	s_delay_alu instid0(VALU_DEP_3) | instskip(NEXT) | instid1(VALU_DEP_3)
	v_add_co_ci_u32_e64 v23, s0, v20, v23, s0
	v_mul_f64_e32 v[26:27], s[10:11], v[26:27]
	s_delay_alu instid0(VALU_DEP_1) | instskip(SKIP_1) | instid1(VALU_DEP_2)
	v_and_or_b32 v2, 0x1ff, v27, v26
	v_lshrrev_b32_e32 v7, 8, v27
	v_cmp_ne_u32_e64 s0, 0, v2
	s_wait_alu 0xf1ff
	s_delay_alu instid0(VALU_DEP_1) | instskip(NEXT) | instid1(VALU_DEP_1)
	v_cndmask_b32_e64 v2, 0, 1, s0
	v_and_or_b32 v2, 0xffe, v7, v2
	v_bfe_u32 v7, v27, 20, 11
	s_delay_alu instid0(VALU_DEP_2) | instskip(NEXT) | instid1(VALU_DEP_2)
	v_or_b32_e32 v26, 0x1000, v2
	v_sub_nc_u32_e32 v9, 0x3f1, v7
	v_add_nc_u32_e32 v7, 0xfffffc10, v7
	s_delay_alu instid0(VALU_DEP_2) | instskip(NEXT) | instid1(VALU_DEP_1)
	v_med3_i32 v9, v9, 0, 13
	v_lshrrev_b32_e32 v28, v9, v26
	s_delay_alu instid0(VALU_DEP_1) | instskip(NEXT) | instid1(VALU_DEP_1)
	v_lshlrev_b32_e32 v9, v9, v28
	v_cmp_ne_u32_e64 s0, v9, v26
	v_lshl_or_b32 v26, v7, 12, v2
	s_wait_alu 0xf1ff
	s_delay_alu instid0(VALU_DEP_2) | instskip(SKIP_1) | instid1(VALU_DEP_2)
	v_cndmask_b32_e64 v9, 0, 1, s0
	v_cmp_gt_i32_e64 s0, 1, v7
	v_or_b32_e32 v9, v28, v9
	s_wait_alu 0xf1ff
	s_delay_alu instid0(VALU_DEP_1) | instskip(NEXT) | instid1(VALU_DEP_1)
	v_cndmask_b32_e64 v9, v26, v9, s0
	v_and_b32_e32 v26, 7, v9
	v_lshrrev_b32_e32 v9, 2, v9
	s_delay_alu instid0(VALU_DEP_2)
	v_cmp_lt_i32_e64 s0, 5, v26
	v_cmp_eq_u32_e64 s3, 3, v26
	s_wait_alu 0xfffd
	v_cndmask_b32_e64 v26, 0, 1, vcc_lo
	v_cmp_ne_u32_e32 vcc_lo, 0, v2
	v_add_nc_u32_e32 v2, 0xfffffc10, v12
	s_or_b32 s0, s3, s0
	s_delay_alu instid0(VALU_DEP_3)
	v_or_b32_e32 v26, v33, v26
	s_wait_alu 0xfffe
	v_add_co_ci_u32_e64 v9, s0, 0, v9, s0
	v_lshl_or_b32 v12, v2, 12, v5
	v_cmp_gt_i32_e64 s4, 1, v2
	v_cmp_gt_i32_e64 s0, 31, v7
	v_cmp_ne_u32_e64 s3, 0, v5
	v_cndmask_b32_e64 v5, 0, 1, s1
	v_cmp_ne_u32_e64 s1, 0, v15
	s_wait_alu 0xf1ff
	v_cndmask_b32_e64 v12, v12, v26, s4
	s_wait_alu 0xfffd
	v_cndmask_b32_e64 v26, 0, 1, vcc_lo
	v_cndmask_b32_e64 v9, 0x7c00, v9, s0
	v_cmp_eq_u32_e32 vcc_lo, 0x40f, v7
	v_or_b32_e32 v5, v35, v5
	s_delay_alu instid0(VALU_DEP_4) | instskip(SKIP_1) | instid1(VALU_DEP_1)
	v_lshl_or_b32 v26, v26, 9, 0x7c00
	s_wait_alu 0xfffd
	v_cndmask_b32_e32 v7, v9, v26, vcc_lo
	v_and_b32_e32 v9, 7, v12
	v_lshrrev_b32_e32 v12, 2, v12
	v_cndmask_b32_e64 v26, 0, 1, s3
	s_delay_alu instid0(VALU_DEP_3) | instskip(SKIP_1) | instid1(VALU_DEP_3)
	v_cmp_lt_i32_e32 vcc_lo, 5, v9
	v_cmp_eq_u32_e64 s0, 3, v9
	v_lshl_or_b32 v26, v26, 9, 0x7c00
	v_lshrrev_b32_e32 v9, 16, v27
	s_delay_alu instid0(VALU_DEP_3)
	s_or_b32 vcc_lo, s0, vcc_lo
	s_wait_alu 0xfffe
	v_add_co_ci_u32_e32 v12, vcc_lo, 0, v12, vcc_lo
	v_cmp_gt_i32_e32 vcc_lo, 31, v2
	v_and_or_b32 v7, 0x8000, v9, v7
	s_wait_alu 0xfffd
	s_delay_alu instid0(VALU_DEP_3) | instskip(SKIP_2) | instid1(VALU_DEP_2)
	v_cndmask_b32_e32 v12, 0x7c00, v12, vcc_lo
	v_cmp_eq_u32_e32 vcc_lo, 0x40f, v2
	s_wait_alu 0xfffd
	v_dual_cndmask_b32 v2, v12, v26 :: v_dual_and_b32 v7, 0xffff, v7
	v_lshrrev_b32_e32 v12, 16, v19
	v_add_nc_u32_e32 v19, 0xfffffc10, v34
	s_delay_alu instid0(VALU_DEP_2) | instskip(NEXT) | instid1(VALU_DEP_2)
	v_and_or_b32 v2, 0x8000, v12, v2
	v_lshl_or_b32 v26, v19, 12, v15
	v_cmp_gt_i32_e32 vcc_lo, 1, v19
	v_add_nc_u32_e32 v12, 0xfffffc10, v36
	s_delay_alu instid0(VALU_DEP_4) | instskip(SKIP_2) | instid1(VALU_DEP_3)
	v_lshl_or_b32 v2, v2, 16, v7
	s_wait_alu 0xfffd
	v_cndmask_b32_e32 v5, v26, v5, vcc_lo
	v_lshl_or_b32 v15, v12, 12, v24
	s_delay_alu instid0(VALU_DEP_2) | instskip(SKIP_1) | instid1(VALU_DEP_2)
	v_and_b32_e32 v9, 7, v5
	v_lshrrev_b32_e32 v5, 2, v5
	v_cmp_lt_i32_e32 vcc_lo, 5, v9
	v_cmp_eq_u32_e64 s0, 3, v9
	v_cndmask_b32_e64 v9, 0, 1, s2
	v_cmp_gt_i32_e64 s2, 1, v12
	s_delay_alu instid0(VALU_DEP_3) | instskip(NEXT) | instid1(VALU_DEP_2)
	s_or_b32 vcc_lo, s0, vcc_lo
	v_or_b32_e32 v9, v37, v9
	s_wait_alu 0xfffe
	v_add_co_ci_u32_e32 v5, vcc_lo, 0, v5, vcc_lo
	v_cmp_gt_i32_e32 vcc_lo, 31, v19
	s_delay_alu instid0(VALU_DEP_3)
	v_cndmask_b32_e64 v9, v15, v9, s2
	v_cndmask_b32_e64 v15, 0, 1, s1
	v_cmp_ne_u32_e64 s1, 0, v24
	s_wait_alu 0xfffd
	v_cndmask_b32_e32 v5, 0x7c00, v5, vcc_lo
	v_cmp_eq_u32_e32 vcc_lo, 0x40f, v19
	v_lshl_or_b32 v15, v15, 9, 0x7c00
	s_wait_alu 0xfffd
	s_delay_alu instid0(VALU_DEP_1) | instskip(SKIP_3) | instid1(VALU_DEP_3)
	v_cndmask_b32_e32 v5, v5, v15, vcc_lo
	v_lshrrev_b32_e32 v15, 16, v16
	v_and_b32_e32 v16, 7, v9
	v_lshrrev_b32_e32 v9, 2, v9
	v_and_or_b32 v5, 0x8000, v15, v5
	s_delay_alu instid0(VALU_DEP_3) | instskip(SKIP_4) | instid1(VALU_DEP_3)
	v_cmp_lt_i32_e32 vcc_lo, 5, v16
	v_cmp_eq_u32_e64 s0, 3, v16
	s_wait_alu 0xf1ff
	v_cndmask_b32_e64 v15, 0, 1, s1
	v_and_b32_e32 v5, 0xffff, v5
	s_or_b32 vcc_lo, s0, vcc_lo
	s_delay_alu instid0(VALU_DEP_2) | instskip(SKIP_4) | instid1(VALU_DEP_2)
	v_lshl_or_b32 v15, v15, 9, 0x7c00
	s_wait_alu 0xfffe
	v_add_co_ci_u32_e32 v9, vcc_lo, 0, v9, vcc_lo
	v_cmp_gt_i32_e32 vcc_lo, 31, v12
	s_wait_alu 0xfffd
	v_cndmask_b32_e32 v9, 0x7c00, v9, vcc_lo
	v_cmp_eq_u32_e32 vcc_lo, 0x40f, v12
	v_lshrrev_b32_e32 v12, 16, v25
	s_wait_alu 0xfffd
	s_delay_alu instid0(VALU_DEP_3) | instskip(NEXT) | instid1(VALU_DEP_1)
	v_cndmask_b32_e32 v9, v9, v15, vcc_lo
	v_and_or_b32 v7, 0x8000, v12, v9
	s_delay_alu instid0(VALU_DEP_1)
	v_lshl_or_b32 v5, v7, 16, v5
	global_store_b32 v[17:18], v2, off
	global_store_b32 v[22:23], v5, off
	s_clause 0x1
	scratch_load_b32 v7, off, off offset:84 th:TH_LOAD_LU
	scratch_load_b32 v9, off, off offset:80 th:TH_LOAD_LU
	v_lshrrev_b32_e32 v2, 16, v0
	s_clause 0x2
	scratch_load_b32 v12, off, off offset:72 th:TH_LOAD_LU
	scratch_load_b32 v28, off, off offset:60 th:TH_LOAD_LU
	;; [unrolled: 1-line block ×3, first 2 shown]
	s_wait_loadcnt 0x4
	v_mul_f16_e32 v5, v7, v2
	v_mul_f16_e32 v7, v7, v0
	s_wait_loadcnt 0x3
	s_delay_alu instid0(VALU_DEP_2) | instskip(NEXT) | instid1(VALU_DEP_2)
	v_fmac_f16_e32 v5, v9, v0
	v_fma_f16 v0, v9, v2, -v7
	scratch_load_b32 v9, off, off offset:76 th:TH_LOAD_LU ; 4-byte Folded Reload
	v_lshrrev_b32_e32 v2, 16, v14
	v_cvt_f32_f16_e32 v0, v0
	s_wait_loadcnt 0x0
	s_delay_alu instid0(VALU_DEP_2) | instskip(SKIP_1) | instid1(VALU_DEP_2)
	v_mul_f16_e32 v7, v9, v2
	v_mul_f16_e32 v9, v9, v14
	v_fmac_f16_e32 v7, v12, v14
	v_cvt_f64_f32_e32 v[14:15], v0
	s_delay_alu instid0(VALU_DEP_3) | instskip(NEXT) | instid1(VALU_DEP_2)
	v_fma_f16 v12, v12, v2, -v9
	v_mul_f64_e32 v[23:24], s[10:11], v[14:15]
	v_lshrrev_b32_e32 v14, 16, v3
	s_delay_alu instid0(VALU_DEP_2) | instskip(SKIP_3) | instid1(VALU_DEP_4)
	v_and_or_b32 v0, 0x1ff, v24, v23
	v_lshrrev_b32_e32 v2, 8, v24
	v_bfe_u32 v26, v24, 20, 11
	v_lshrrev_b32_e32 v24, 16, v24
	v_cmp_ne_u32_e32 vcc_lo, 0, v0
	s_wait_alu 0xfffd
	v_cndmask_b32_e64 v0, 0, 1, vcc_lo
	s_delay_alu instid0(VALU_DEP_1) | instskip(SKIP_2) | instid1(VALU_DEP_3)
	v_and_or_b32 v25, 0xffe, v2, v0
	v_sub_nc_u32_e32 v0, 0x3f1, v26
	v_add_nc_u32_e32 v26, 0xfffffc10, v26
	v_or_b32_e32 v2, 0x1000, v25
	s_delay_alu instid0(VALU_DEP_3) | instskip(SKIP_1) | instid1(VALU_DEP_2)
	v_med3_i32 v0, v0, 0, 13
	v_cmp_ne_u32_e64 s7, 0, v25
	v_lshrrev_b32_e32 v27, v0, v2
	s_delay_alu instid0(VALU_DEP_1) | instskip(NEXT) | instid1(VALU_DEP_1)
	v_lshlrev_b32_e32 v0, v0, v27
	v_cmp_ne_u32_e64 s2, v0, v2
	scratch_load_b32 v0, off, off offset:64 th:TH_LOAD_LU ; 4-byte Folded Reload
	s_wait_loadcnt 0x0
	v_mul_f16_e32 v23, v0, v14
	v_mul_f16_e32 v22, v0, v3
	v_cvt_f32_f16_e32 v0, v7
	s_delay_alu instid0(VALU_DEP_3) | instskip(NEXT) | instid1(VALU_DEP_3)
	v_fmac_f16_e32 v23, v28, v3
	v_fma_f16 v28, v28, v14, -v22
	s_delay_alu instid0(VALU_DEP_3) | instskip(NEXT) | instid1(VALU_DEP_1)
	v_cvt_f64_f32_e32 v[2:3], v0
	v_mul_f64_e32 v[15:16], s[10:11], v[2:3]
	s_delay_alu instid0(VALU_DEP_1) | instskip(SKIP_2) | instid1(VALU_DEP_3)
	v_and_or_b32 v0, 0x1ff, v16, v15
	v_lshrrev_b32_e32 v2, 8, v16
	v_bfe_u32 v9, v16, 20, 11
	v_cmp_ne_u32_e32 vcc_lo, 0, v0
	s_wait_alu 0xfffd
	v_cndmask_b32_e64 v0, 0, 1, vcc_lo
	s_delay_alu instid0(VALU_DEP_1) | instskip(SKIP_2) | instid1(VALU_DEP_3)
	v_and_or_b32 v0, 0xffe, v2, v0
	v_sub_nc_u32_e32 v2, 0x3f1, v9
	v_add_nc_u32_e32 v9, 0xfffffc10, v9
	v_or_b32_e32 v3, 0x1000, v0
	s_delay_alu instid0(VALU_DEP_3) | instskip(NEXT) | instid1(VALU_DEP_1)
	v_med3_i32 v2, v2, 0, 13
	v_lshrrev_b32_e32 v19, v2, v3
	s_delay_alu instid0(VALU_DEP_1) | instskip(NEXT) | instid1(VALU_DEP_1)
	v_lshlrev_b32_e32 v2, v2, v19
	v_cmp_ne_u32_e32 vcc_lo, v2, v3
	v_cvt_f32_f16_e32 v2, v12
	s_delay_alu instid0(VALU_DEP_1) | instskip(NEXT) | instid1(VALU_DEP_1)
	v_cvt_f64_f32_e32 v[2:3], v2
	v_mul_f64_e32 v[14:15], s[10:11], v[2:3]
	s_delay_alu instid0(VALU_DEP_1) | instskip(SKIP_2) | instid1(VALU_DEP_3)
	v_and_or_b32 v2, 0x1ff, v15, v14
	v_lshrrev_b32_e32 v3, 8, v15
	v_bfe_u32 v14, v15, 20, 11
	v_cmp_ne_u32_e64 s0, 0, v2
	s_wait_alu 0xf1ff
	s_delay_alu instid0(VALU_DEP_1) | instskip(NEXT) | instid1(VALU_DEP_1)
	v_cndmask_b32_e64 v2, 0, 1, s0
	v_and_or_b32 v7, 0xffe, v3, v2
	v_sub_nc_u32_e32 v2, 0x3f1, v14
	v_add_nc_u32_e32 v14, 0xfffffc10, v14
	s_delay_alu instid0(VALU_DEP_3) | instskip(NEXT) | instid1(VALU_DEP_3)
	v_or_b32_e32 v3, 0x1000, v7
	v_med3_i32 v2, v2, 0, 13
	s_delay_alu instid0(VALU_DEP_1) | instskip(NEXT) | instid1(VALU_DEP_1)
	v_lshrrev_b32_e32 v22, v2, v3
	v_lshlrev_b32_e32 v2, v2, v22
	s_delay_alu instid0(VALU_DEP_1)
	v_cmp_ne_u32_e64 s0, v2, v3
	scratch_load_b32 v2, off, off offset:56 th:TH_LOAD_LU ; 4-byte Folded Reload
	s_wait_loadcnt 0x0
	v_mul_f16_e32 v30, v2, v29
	v_mul_f16_e32 v31, v2, v13
	v_cvt_f32_f16_e32 v2, v23
	s_delay_alu instid0(VALU_DEP_3) | instskip(NEXT) | instid1(VALU_DEP_2)
	v_fmac_f16_e32 v30, v34, v13
	v_cvt_f64_f32_e32 v[2:3], v2
	s_delay_alu instid0(VALU_DEP_1) | instskip(NEXT) | instid1(VALU_DEP_1)
	v_mul_f64_e32 v[12:13], s[10:11], v[2:3]
	v_and_or_b32 v2, 0x1ff, v13, v12
	v_lshrrev_b32_e32 v3, 8, v13
	v_bfe_u32 v32, v13, 20, 11
	v_fma_f16 v12, v34, v29, -v31
	s_delay_alu instid0(VALU_DEP_4) | instskip(NEXT) | instid1(VALU_DEP_2)
	v_cmp_ne_u32_e64 s1, 0, v2
	v_cvt_f32_f16_e32 v12, v12
	s_wait_alu 0xf1ff
	s_delay_alu instid0(VALU_DEP_2) | instskip(NEXT) | instid1(VALU_DEP_1)
	v_cndmask_b32_e64 v2, 0, 1, s1
	v_and_or_b32 v23, 0xffe, v3, v2
	v_sub_nc_u32_e32 v2, 0x3f1, v32
	s_delay_alu instid0(VALU_DEP_2) | instskip(NEXT) | instid1(VALU_DEP_2)
	v_or_b32_e32 v3, 0x1000, v23
	v_med3_i32 v2, v2, 0, 13
	s_delay_alu instid0(VALU_DEP_1) | instskip(NEXT) | instid1(VALU_DEP_1)
	v_lshrrev_b32_e32 v33, v2, v3
	v_lshlrev_b32_e32 v2, v2, v33
	s_delay_alu instid0(VALU_DEP_1) | instskip(SKIP_1) | instid1(VALU_DEP_1)
	v_cmp_ne_u32_e64 s1, v2, v3
	v_cvt_f32_f16_e32 v2, v5
	v_cvt_f64_f32_e32 v[2:3], v2
	s_delay_alu instid0(VALU_DEP_1) | instskip(NEXT) | instid1(VALU_DEP_1)
	v_mul_f64_e32 v[2:3], s[10:11], v[2:3]
	v_and_or_b32 v2, 0x1ff, v3, v2
	v_lshrrev_b32_e32 v5, 8, v3
	s_delay_alu instid0(VALU_DEP_2) | instskip(SKIP_1) | instid1(VALU_DEP_1)
	v_cmp_ne_u32_e64 s3, 0, v2
	s_wait_alu 0xf1ff
	v_cndmask_b32_e64 v2, 0, 1, s3
	s_delay_alu instid0(VALU_DEP_1) | instskip(SKIP_2) | instid1(VALU_DEP_3)
	v_and_or_b32 v2, 0xffe, v5, v2
	v_bfe_u32 v5, v3, 20, 11
	v_lshrrev_b32_e32 v3, 16, v3
	v_or_b32_e32 v31, 0x1000, v2
	s_delay_alu instid0(VALU_DEP_3) | instskip(SKIP_2) | instid1(VALU_DEP_3)
	v_sub_nc_u32_e32 v29, 0x3f1, v5
	v_add_nc_u32_e32 v5, 0xfffffc10, v5
	v_cmp_ne_u32_e64 s4, 0, v2
	v_med3_i32 v29, v29, 0, 13
	s_delay_alu instid0(VALU_DEP_1) | instskip(NEXT) | instid1(VALU_DEP_1)
	v_lshrrev_b32_e32 v34, v29, v31
	v_lshlrev_b32_e32 v29, v29, v34
	s_delay_alu instid0(VALU_DEP_1) | instskip(SKIP_2) | instid1(VALU_DEP_2)
	v_cmp_ne_u32_e64 s3, v29, v31
	v_lshl_or_b32 v31, v5, 12, v2
	s_wait_alu 0xf1ff
	v_cndmask_b32_e64 v29, 0, 1, s3
	v_cmp_gt_i32_e64 s3, 1, v5
	s_delay_alu instid0(VALU_DEP_2) | instskip(SKIP_1) | instid1(VALU_DEP_1)
	v_or_b32_e32 v29, v34, v29
	s_wait_alu 0xf1ff
	v_cndmask_b32_e64 v29, v31, v29, s3
	v_cndmask_b32_e64 v31, 0, 1, s2
	v_cmp_gt_i32_e64 s2, 1, v26
	s_delay_alu instid0(VALU_DEP_2) | instskip(SKIP_3) | instid1(VALU_DEP_2)
	v_or_b32_e32 v27, v27, v31
	v_lshl_or_b32 v31, v26, 12, v25
	v_cndmask_b32_e64 v25, 0, 1, s4
	s_wait_alu 0xf1ff
	v_cndmask_b32_e64 v27, v31, v27, s2
	v_and_b32_e32 v31, 7, v29
	s_delay_alu instid0(VALU_DEP_3) | instskip(NEXT) | instid1(VALU_DEP_3)
	v_lshl_or_b32 v25, v25, 9, 0x7c00
	v_and_b32_e32 v2, 7, v27
	s_delay_alu instid0(VALU_DEP_3) | instskip(SKIP_2) | instid1(VALU_DEP_4)
	v_cmp_lt_i32_e64 s2, 5, v31
	v_cmp_eq_u32_e64 s3, 3, v31
	v_lshrrev_b32_e32 v31, 16, v15
	v_cmp_lt_i32_e64 s5, 5, v2
	v_cmp_eq_u32_e64 s6, 3, v2
	v_lshrrev_b32_e32 v2, 2, v29
	s_or_b32 s2, s3, s2
	s_wait_alu 0xfffe
	s_delay_alu instid0(VALU_DEP_1) | instskip(SKIP_2) | instid1(VALU_DEP_1)
	v_add_co_ci_u32_e64 v2, s2, 0, v2, s2
	v_cmp_gt_i32_e64 s2, 31, v5
	s_wait_alu 0xf1ff
	v_cndmask_b32_e64 v2, 0x7c00, v2, s2
	v_cmp_eq_u32_e64 s2, 0x40f, v5
	v_lshrrev_b32_e32 v5, 2, v27
	s_wait_alu 0xf1ff
	s_delay_alu instid0(VALU_DEP_2)
	v_cndmask_b32_e64 v2, v2, v25, s2
	s_or_b32 s2, s6, s5
	v_cndmask_b32_e64 v25, 0, 1, s7
	s_wait_alu 0xfffe
	v_add_co_ci_u32_e64 v5, s2, 0, v5, s2
	v_cmp_gt_i32_e64 s2, 31, v26
	v_and_or_b32 v2, 0x8000, v3, v2
	v_lshl_or_b32 v25, v25, 9, 0x7c00
	v_cmp_ne_u32_e64 s6, 0, v7
	s_wait_alu 0xf1ff
	v_cndmask_b32_e64 v5, 0x7c00, v5, s2
	v_cmp_eq_u32_e64 s2, 0x40f, v26
	v_and_b32_e32 v2, 0xffff, v2
	s_wait_alu 0xf1ff
	s_delay_alu instid0(VALU_DEP_2) | instskip(SKIP_3) | instid1(VALU_DEP_1)
	v_cndmask_b32_e64 v5, v5, v25, s2
	s_mul_i32 s2, s9, 0xffffdd80
	s_wait_alu 0xfffe
	s_sub_co_i32 s2, s2, s8
	v_and_or_b32 v3, 0x8000, v24, v5
	scratch_load_b32 v24, off, off offset:44 th:TH_LOAD_LU ; 4-byte Folded Reload
	v_lshl_or_b32 v5, v3, 16, v2
	v_mad_co_u64_u32 v[2:3], null, 0xffffdd80, s8, v[17:18]
	s_wait_alu 0xfffe
	s_delay_alu instid0(VALU_DEP_1)
	v_add_nc_u32_e32 v3, s2, v3
	global_store_b32 v[2:3], v5, off
	v_cvt_f32_f16_e32 v5, v28
	v_add_co_u32 v2, s2, v2, s12
	s_wait_alu 0xf1ff
	v_add_co_ci_u32_e64 v3, s2, s13, v3, s2
	s_delay_alu instid0(VALU_DEP_3) | instskip(NEXT) | instid1(VALU_DEP_1)
	v_cvt_f64_f32_e32 v[17:18], v5
	v_mul_f64_e32 v[17:18], s[10:11], v[17:18]
	s_delay_alu instid0(VALU_DEP_1) | instskip(SKIP_2) | instid1(VALU_DEP_3)
	v_and_or_b32 v5, 0x1ff, v18, v17
	v_lshrrev_b32_e32 v17, 8, v18
	v_bfe_u32 v27, v18, 20, 11
	v_cmp_ne_u32_e64 s2, 0, v5
	s_wait_alu 0xf1ff
	s_delay_alu instid0(VALU_DEP_1) | instskip(NEXT) | instid1(VALU_DEP_1)
	v_cndmask_b32_e64 v5, 0, 1, s2
	v_and_or_b32 v26, 0xffe, v17, v5
	v_sub_nc_u32_e32 v5, 0x3f1, v27
	s_delay_alu instid0(VALU_DEP_2) | instskip(NEXT) | instid1(VALU_DEP_2)
	v_or_b32_e32 v17, 0x1000, v26
	v_med3_i32 v5, v5, 0, 13
	s_delay_alu instid0(VALU_DEP_1) | instskip(NEXT) | instid1(VALU_DEP_1)
	v_lshrrev_b32_e32 v28, v5, v17
	v_lshlrev_b32_e32 v5, v5, v28
	s_delay_alu instid0(VALU_DEP_1) | instskip(SKIP_3) | instid1(VALU_DEP_1)
	v_cmp_ne_u32_e64 s2, v5, v17
	scratch_load_b32 v17, off, off offset:48 th:TH_LOAD_LU ; 4-byte Folded Reload
	v_lshrrev_b32_e32 v5, 16, v6
	s_wait_loadcnt 0x0
	v_mul_f16_e32 v29, v17, v5
	v_mul_f16_e32 v17, v17, v6
	s_delay_alu instid0(VALU_DEP_2) | instskip(SKIP_2) | instid1(VALU_DEP_1)
	v_fmac_f16_e32 v29, v24, v6
	scratch_load_b32 v6, off, off offset:240 th:TH_LOAD_LU ; 4-byte Folded Reload
	v_fma_f16 v17, v24, v5, -v17
	v_cvt_f32_f16_e32 v17, v17
	s_wait_loadcnt 0x0
	v_mad_co_u64_u32 v[24:25], null, s8, v6, 0
	s_delay_alu instid0(VALU_DEP_1) | instskip(NEXT) | instid1(VALU_DEP_1)
	v_mov_b32_e32 v5, v25
	v_mad_co_u64_u32 v[5:6], null, s9, v6, v[5:6]
	s_delay_alu instid0(VALU_DEP_1) | instskip(SKIP_1) | instid1(VALU_DEP_1)
	v_mov_b32_e32 v25, v5
	v_cvt_f32_f16_e32 v5, v30
	v_cvt_f64_f32_e32 v[5:6], v5
	s_delay_alu instid0(VALU_DEP_1) | instskip(NEXT) | instid1(VALU_DEP_1)
	v_mul_f64_e32 v[5:6], s[10:11], v[5:6]
	v_and_or_b32 v5, 0x1ff, v6, v5
	v_lshrrev_b32_e32 v30, 8, v6
	s_delay_alu instid0(VALU_DEP_2) | instskip(SKIP_1) | instid1(VALU_DEP_1)
	v_cmp_ne_u32_e64 s3, 0, v5
	s_wait_alu 0xf1ff
	v_cndmask_b32_e64 v5, 0, 1, s3
	v_cmp_ne_u32_e64 s3, 0, v0
	s_delay_alu instid0(VALU_DEP_2) | instskip(SKIP_3) | instid1(VALU_DEP_2)
	v_and_or_b32 v5, 0xffe, v30, v5
	s_wait_alu 0xfffd
	v_cndmask_b32_e64 v30, 0, 1, vcc_lo
	v_cmp_gt_i32_e32 vcc_lo, 1, v9
	v_or_b32_e32 v19, v19, v30
	v_lshl_or_b32 v30, v9, 12, v0
	s_wait_alu 0xfffd
	s_delay_alu instid0(VALU_DEP_1) | instskip(SKIP_2) | instid1(VALU_DEP_2)
	v_cndmask_b32_e32 v19, v30, v19, vcc_lo
	v_cndmask_b32_e64 v30, 0, 1, s0
	v_cmp_gt_i32_e32 vcc_lo, 1, v14
	v_or_b32_e32 v22, v22, v30
	v_lshl_or_b32 v30, v14, 12, v7
	s_wait_alu 0xf1ff
	v_cndmask_b32_e64 v7, 0, 1, s3
	s_wait_alu 0xfffd
	s_delay_alu instid0(VALU_DEP_2) | instskip(SKIP_1) | instid1(VALU_DEP_3)
	v_cndmask_b32_e32 v22, v30, v22, vcc_lo
	v_and_b32_e32 v30, 7, v19
	v_lshl_or_b32 v7, v7, 9, 0x7c00
	s_delay_alu instid0(VALU_DEP_3) | instskip(NEXT) | instid1(VALU_DEP_3)
	v_and_b32_e32 v0, 7, v22
	v_cmp_lt_i32_e32 vcc_lo, 5, v30
	v_cmp_eq_u32_e64 s0, 3, v30
	s_delay_alu instid0(VALU_DEP_3) | instskip(SKIP_2) | instid1(VALU_DEP_4)
	v_cmp_lt_i32_e64 s4, 5, v0
	v_cmp_eq_u32_e64 s5, 3, v0
	v_lshrrev_b32_e32 v0, 2, v19
	s_or_b32 vcc_lo, s0, vcc_lo
	s_wait_alu 0xfffe
	s_delay_alu instid0(VALU_DEP_1) | instskip(SKIP_2) | instid1(VALU_DEP_2)
	v_add_co_ci_u32_e32 v0, vcc_lo, 0, v0, vcc_lo
	v_cmp_gt_i32_e32 vcc_lo, 31, v9
	s_wait_alu 0xfffd
	v_cndmask_b32_e32 v0, 0x7c00, v0, vcc_lo
	v_cmp_eq_u32_e32 vcc_lo, 0x40f, v9
	v_cndmask_b32_e64 v9, 0, 1, s1
	v_cmp_ne_u32_e64 s1, 0, v23
	s_wait_alu 0xfffd
	v_cndmask_b32_e32 v0, v0, v7, vcc_lo
	v_lshrrev_b32_e32 v7, 16, v16
	v_add_nc_u32_e32 v16, 0xfffffc10, v32
	v_or_b32_e32 v9, v33, v9
	scratch_load_b32 v32, off, off offset:24 th:TH_LOAD_LU ; 4-byte Folded Reload
	v_and_or_b32 v0, 0x8000, v7, v0
	v_lshl_or_b32 v19, v16, 12, v23
	v_cmp_gt_i32_e32 vcc_lo, 1, v16
	s_wait_alu 0xfffd
	s_delay_alu instid0(VALU_DEP_2) | instskip(SKIP_3) | instid1(VALU_DEP_3)
	v_dual_cndmask_b32 v9, v19, v9 :: v_dual_and_b32 v0, 0xffff, v0
	v_lshrrev_b32_e32 v19, 2, v22
	s_or_b32 vcc_lo, s5, s4
	v_cndmask_b32_e64 v22, 0, 1, s6
	v_and_b32_e32 v7, 7, v9
	s_wait_alu 0xfffe
	v_add_co_ci_u32_e32 v19, vcc_lo, 0, v19, vcc_lo
	v_cmp_gt_i32_e32 vcc_lo, 31, v14
	v_lshl_or_b32 v22, v22, 9, 0x7c00
	v_cmp_eq_u32_e64 s0, 3, v7
	v_lshrrev_b32_e32 v9, 2, v9
	s_wait_alu 0xfffd
	v_cndmask_b32_e32 v19, 0x7c00, v19, vcc_lo
	v_cmp_eq_u32_e32 vcc_lo, 0x40f, v14
	v_add_nc_u32_e32 v14, 0xfffffc10, v27
	v_lshrrev_b32_e32 v27, 16, v18
	s_wait_alu 0xfffd
	v_cndmask_b32_e32 v30, v19, v22, vcc_lo
	v_cmp_lt_i32_e32 vcc_lo, 5, v7
	v_cndmask_b32_e64 v7, 0, 1, s2
	v_lshl_or_b32 v15, v14, 12, v26
	v_cmp_gt_i32_e64 s2, 1, v14
	v_cvt_f32_f16_e32 v19, v29
	s_or_b32 vcc_lo, s0, vcc_lo
	v_or_b32_e32 v7, v28, v7
	s_wait_alu 0xfffe
	v_add_co_ci_u32_e32 v9, vcc_lo, 0, v9, vcc_lo
	v_cmp_gt_i32_e32 vcc_lo, 31, v16
	scratch_load_b32 v29, off, off offset:36 th:TH_LOAD_LU ; 4-byte Folded Reload
	v_cndmask_b32_e64 v7, v15, v7, s2
	v_cndmask_b32_e64 v15, 0, 1, s1
	s_wait_alu 0xfffd
	v_cndmask_b32_e32 v9, 0x7c00, v9, vcc_lo
	v_cmp_eq_u32_e32 vcc_lo, 0x40f, v16
	v_lshrrev_b32_e32 v16, 16, v13
	v_lshl_or_b32 v15, v15, 9, 0x7c00
	v_cvt_f64_f32_e32 v[12:13], v12
	s_wait_alu 0xfffd
	s_delay_alu instid0(VALU_DEP_2) | instskip(SKIP_2) | instid1(VALU_DEP_3)
	v_cndmask_b32_e32 v9, v9, v15, vcc_lo
	v_and_b32_e32 v15, 7, v7
	v_lshrrev_b32_e32 v7, 2, v7
	v_and_or_b32 v9, 0x8000, v16, v9
	s_delay_alu instid0(VALU_DEP_3) | instskip(SKIP_2) | instid1(VALU_DEP_4)
	v_cmp_lt_i32_e32 vcc_lo, 5, v15
	v_cmp_eq_u32_e64 s0, 3, v15
	v_and_or_b32 v16, 0x8000, v31, v30
	v_and_b32_e32 v9, 0xffff, v9
	s_delay_alu instid0(VALU_DEP_3) | instskip(NEXT) | instid1(VALU_DEP_2)
	s_or_b32 vcc_lo, s0, vcc_lo
	v_lshl_or_b32 v0, v16, 16, v0
	s_wait_alu 0xfffe
	v_add_co_ci_u32_e32 v7, vcc_lo, 0, v7, vcc_lo
	v_cmp_ne_u32_e32 vcc_lo, 0, v26
	global_store_b32 v[2:3], v0, off
	v_add_co_u32 v2, s3, v2, s14
	s_wait_alu 0xfffd
	v_cndmask_b32_e64 v15, 0, 1, vcc_lo
	v_cmp_gt_i32_e32 vcc_lo, 31, v14
	s_wait_alu 0xf1ff
	v_add_co_ci_u32_e64 v3, s3, s15, v3, s3
	s_delay_alu instid0(VALU_DEP_3)
	v_lshl_or_b32 v26, v15, 9, 0x7c00
	s_wait_alu 0xfffd
	v_cndmask_b32_e32 v7, 0x7c00, v7, vcc_lo
	v_cmp_eq_u32_e32 vcc_lo, 0x40f, v14
	v_cvt_f64_f32_e32 v[14:15], v19
	v_lshlrev_b64_e32 v[18:19], 2, v[24:25]
	s_wait_alu 0xfffd
	v_cndmask_b32_e32 v7, v7, v26, vcc_lo
	v_mul_f64_e32 v[22:23], s[10:11], v[12:13]
	v_bfe_u32 v26, v6, 20, 11
	v_lshrrev_b32_e32 v6, 16, v6
	s_delay_alu instid0(VALU_DEP_4) | instskip(SKIP_3) | instid1(VALU_DEP_2)
	v_and_or_b32 v7, 0x8000, v27, v7
	scratch_load_b32 v27, off, off offset:40 th:TH_LOAD_LU ; 4-byte Folded Reload
	v_sub_nc_u32_e32 v12, 0x3f1, v26
	v_lshl_or_b32 v7, v7, 16, v9
	v_med3_i32 v28, v12, 0, 13
	v_mul_f64_e32 v[12:13], s[10:11], v[14:15]
	v_add_co_u32 v14, vcc_lo, v21, v18
	v_lshrrev_b32_e32 v18, 16, v11
	s_wait_alu 0xfffd
	v_add_co_ci_u32_e32 v15, vcc_lo, v20, v19, vcc_lo
	v_and_or_b32 v22, 0x1ff, v23, v22
	v_lshrrev_b32_e32 v16, 8, v23
	v_bfe_u32 v19, v23, 20, 11
	global_store_b32 v[14:15], v7, off
	v_cmp_ne_u32_e32 vcc_lo, 0, v22
	v_or_b32_e32 v22, 0x1000, v5
	s_wait_alu 0xfffd
	v_cndmask_b32_e64 v9, 0, 1, vcc_lo
	s_delay_alu instid0(VALU_DEP_2) | instskip(NEXT) | instid1(VALU_DEP_2)
	v_lshrrev_b32_e32 v7, v28, v22
	v_and_or_b32 v9, 0xffe, v16, v9
	v_sub_nc_u32_e32 v16, 0x3f1, v19
	s_delay_alu instid0(VALU_DEP_3) | instskip(SKIP_1) | instid1(VALU_DEP_4)
	v_lshlrev_b32_e32 v14, v28, v7
	v_add_nc_u32_e32 v19, 0xfffffc10, v19
	v_or_b32_e32 v24, 0x1000, v9
	s_delay_alu instid0(VALU_DEP_4) | instskip(NEXT) | instid1(VALU_DEP_4)
	v_med3_i32 v16, v16, 0, 13
	v_cmp_ne_u32_e64 s0, v14, v22
	s_delay_alu instid0(VALU_DEP_2) | instskip(SKIP_2) | instid1(VALU_DEP_2)
	v_lshrrev_b32_e32 v25, v16, v24
	v_and_or_b32 v12, 0x1ff, v13, v12
	v_bfe_u32 v22, v13, 20, 11
	v_cmp_ne_u32_e32 vcc_lo, 0, v12
	v_lshrrev_b32_e32 v12, 8, v13
	v_lshrrev_b32_e32 v13, 16, v13
	s_wait_loadcnt 0x0
	v_mul_f16_e32 v0, v27, v18
	s_delay_alu instid0(VALU_DEP_1) | instskip(NEXT) | instid1(VALU_DEP_1)
	v_fmac_f16_e32 v0, v29, v11
	v_cvt_f32_f16_e32 v0, v0
	s_delay_alu instid0(VALU_DEP_1) | instskip(SKIP_2) | instid1(VALU_DEP_2)
	v_cvt_f64_f32_e32 v[14:15], v0
	v_lshlrev_b32_e32 v0, v16, v25
	v_mul_f16_e32 v16, v27, v11
	v_cmp_ne_u32_e64 s1, v0, v24
	s_wait_alu 0xfffd
	v_cndmask_b32_e64 v0, 0, 1, vcc_lo
	s_delay_alu instid0(VALU_DEP_3) | instskip(SKIP_3) | instid1(VALU_DEP_2)
	v_fma_f16 v16, v29, v18, -v16
	scratch_load_b32 v29, off, off offset:28 th:TH_LOAD_LU ; 4-byte Folded Reload
	v_and_or_b32 v24, 0xffe, v12, v0
	v_sub_nc_u32_e32 v0, 0x3f1, v22
	v_or_b32_e32 v11, 0x1000, v24
	s_delay_alu instid0(VALU_DEP_2) | instskip(NEXT) | instid1(VALU_DEP_1)
	v_med3_i32 v0, v0, 0, 13
	v_lshrrev_b32_e32 v27, v0, v11
	s_delay_alu instid0(VALU_DEP_1) | instskip(NEXT) | instid1(VALU_DEP_1)
	v_lshlrev_b32_e32 v0, v0, v27
	v_cmp_ne_u32_e64 s2, v0, v11
	v_lshrrev_b32_e32 v0, 16, v1
	v_mul_f64_e32 v[11:12], s[10:11], v[14:15]
	v_cvt_f64_f32_e32 v[14:15], v17
	scratch_load_b32 v17, off, off offset:32 th:TH_LOAD_LU ; 4-byte Folded Reload
	v_and_or_b32 v11, 0x1ff, v12, v11
	v_mul_f64_e32 v[14:15], s[10:11], v[14:15]
	v_bfe_u32 v28, v12, 20, 11
	s_delay_alu instid0(VALU_DEP_3)
	v_cmp_ne_u32_e32 vcc_lo, 0, v11
	v_lshrrev_b32_e32 v11, 8, v12
	v_lshrrev_b32_e32 v12, 16, v12
	s_wait_loadcnt 0x0
	v_mul_f16_e32 v18, v17, v0
	v_mul_f16_e32 v17, v17, v1
	s_delay_alu instid0(VALU_DEP_2) | instskip(SKIP_2) | instid1(VALU_DEP_3)
	v_fmac_f16_e32 v18, v29, v1
	s_wait_alu 0xfffd
	v_cndmask_b32_e64 v1, 0, 1, vcc_lo
	v_fma_f16 v29, v29, v0, -v17
	s_delay_alu instid0(VALU_DEP_2) | instskip(SKIP_2) | instid1(VALU_DEP_2)
	v_and_or_b32 v11, 0xffe, v11, v1
	v_sub_nc_u32_e32 v1, 0x3f1, v28
	v_add_nc_u32_e32 v28, 0xfffffc10, v28
	v_med3_i32 v0, v1, 0, 13
	s_delay_alu instid0(VALU_DEP_4) | instskip(NEXT) | instid1(VALU_DEP_1)
	v_or_b32_e32 v1, 0x1000, v11
	v_lshrrev_b32_e32 v30, v0, v1
	s_delay_alu instid0(VALU_DEP_1) | instskip(NEXT) | instid1(VALU_DEP_1)
	v_lshlrev_b32_e32 v0, v0, v30
	v_cmp_ne_u32_e32 vcc_lo, v0, v1
	v_and_or_b32 v0, 0x1ff, v15, v14
	v_lshrrev_b32_e32 v1, 8, v15
	v_cvt_f32_f16_e32 v14, v16
	s_delay_alu instid0(VALU_DEP_3) | instskip(SKIP_1) | instid1(VALU_DEP_1)
	v_cmp_ne_u32_e64 s3, 0, v0
	s_wait_alu 0xf1ff
	v_cndmask_b32_e64 v0, 0, 1, s3
	s_delay_alu instid0(VALU_DEP_1) | instskip(SKIP_1) | instid1(VALU_DEP_1)
	v_and_or_b32 v31, 0xffe, v1, v0
	v_cvt_f64_f32_e32 v[0:1], v14
	v_mul_f64_e32 v[16:17], s[10:11], v[0:1]
	s_delay_alu instid0(VALU_DEP_1) | instskip(SKIP_1) | instid1(VALU_DEP_2)
	v_and_or_b32 v0, 0x1ff, v17, v16
	v_lshrrev_b32_e32 v1, 8, v17
	v_cmp_ne_u32_e64 s3, 0, v0
	s_wait_alu 0xf1ff
	s_delay_alu instid0(VALU_DEP_1) | instskip(NEXT) | instid1(VALU_DEP_1)
	v_cndmask_b32_e64 v0, 0, 1, s3
	v_and_or_b32 v16, 0xffe, v1, v0
	v_cvt_f32_f16_e32 v0, v18
	s_delay_alu instid0(VALU_DEP_1) | instskip(NEXT) | instid1(VALU_DEP_1)
	v_cvt_f64_f32_e32 v[0:1], v0
	v_mul_f64_e32 v[0:1], s[10:11], v[0:1]
	s_delay_alu instid0(VALU_DEP_1) | instskip(SKIP_1) | instid1(VALU_DEP_2)
	v_and_or_b32 v0, 0x1ff, v1, v0
	v_lshrrev_b32_e32 v14, 8, v1
	v_cmp_ne_u32_e64 s3, 0, v0
	s_wait_alu 0xf1ff
	s_delay_alu instid0(VALU_DEP_1) | instskip(SKIP_1) | instid1(VALU_DEP_2)
	v_cndmask_b32_e64 v0, 0, 1, s3
	v_cmp_ne_u32_e64 s3, 0, v5
	v_and_or_b32 v0, 0xffe, v14, v0
	v_cndmask_b32_e64 v14, 0, 1, s0
	s_delay_alu instid0(VALU_DEP_1) | instskip(SKIP_1) | instid1(VALU_DEP_1)
	v_or_b32_e32 v7, v7, v14
	v_add_nc_u32_e32 v14, 0xfffffc10, v26
	v_lshl_or_b32 v18, v14, 12, v5
	v_cmp_gt_i32_e64 s0, 1, v14
	s_wait_alu 0xf1ff
	s_delay_alu instid0(VALU_DEP_1) | instskip(SKIP_2) | instid1(VALU_DEP_2)
	v_cndmask_b32_e64 v7, v18, v7, s0
	v_cndmask_b32_e64 v18, 0, 1, s1
	v_cmp_gt_i32_e64 s0, 1, v19
	v_or_b32_e32 v18, v25, v18
	v_lshl_or_b32 v25, v19, 12, v9
	s_wait_alu 0xf1ff
	s_delay_alu instid0(VALU_DEP_1) | instskip(SKIP_1) | instid1(VALU_DEP_2)
	v_cndmask_b32_e64 v18, v25, v18, s0
	v_and_b32_e32 v25, 7, v7
	v_and_b32_e32 v5, 7, v18
	s_delay_alu instid0(VALU_DEP_2) | instskip(SKIP_1) | instid1(VALU_DEP_3)
	v_cmp_lt_i32_e64 s0, 5, v25
	v_cmp_eq_u32_e64 s1, 3, v25
	v_cmp_lt_i32_e64 s4, 5, v5
	v_cmp_eq_u32_e64 s5, 3, v5
	v_lshrrev_b32_e32 v5, 2, v7
	s_delay_alu instid0(VALU_DEP_4) | instskip(SKIP_2) | instid1(VALU_DEP_2)
	s_or_b32 s0, s1, s0
	v_cndmask_b32_e64 v7, 0, 1, s3
	s_wait_alu 0xfffe
	v_add_co_ci_u32_e64 v5, s0, 0, v5, s0
	v_cmp_gt_i32_e64 s0, 31, v14
	s_delay_alu instid0(VALU_DEP_3) | instskip(SKIP_1) | instid1(VALU_DEP_2)
	v_lshl_or_b32 v7, v7, 9, 0x7c00
	s_wait_alu 0xf1ff
	v_cndmask_b32_e64 v5, 0x7c00, v5, s0
	v_cmp_eq_u32_e64 s0, 0x40f, v14
	v_lshrrev_b32_e32 v14, 2, v18
	v_bfe_u32 v18, v15, 20, 11
	v_lshrrev_b32_e32 v15, 16, v15
	s_wait_alu 0xf1ff
	v_cndmask_b32_e64 v5, v5, v7, s0
	s_or_b32 s0, s5, s4
	v_cndmask_b32_e64 v7, 0, 1, s2
	s_wait_alu 0xfffe
	v_add_co_ci_u32_e64 v14, s0, 0, v14, s0
	v_cmp_ne_u32_e64 s0, 0, v9
	v_and_or_b32 v25, 0x8000, v6, v5
	v_or_b32_e32 v7, v27, v7
	s_wait_alu 0xf1ff
	s_delay_alu instid0(VALU_DEP_3) | instskip(SKIP_1) | instid1(VALU_DEP_2)
	v_cndmask_b32_e64 v9, 0, 1, s0
	v_cmp_gt_i32_e64 s0, 31, v19
	v_lshl_or_b32 v9, v9, 9, 0x7c00
	s_wait_alu 0xf1ff
	s_delay_alu instid0(VALU_DEP_2) | instskip(SKIP_4) | instid1(VALU_DEP_3)
	v_cndmask_b32_e64 v14, 0x7c00, v14, s0
	v_cmp_eq_u32_e64 s0, 0x40f, v19
	v_add_nc_u32_e32 v19, 0xfffffc10, v22
	v_lshrrev_b32_e32 v22, 16, v23
	s_wait_alu 0xf1ff
	v_cndmask_b32_e64 v9, v14, v9, s0
	v_sub_nc_u32_e32 v14, 0x3f1, v18
	v_lshl_or_b32 v23, v19, 12, v24
	v_cmp_gt_i32_e64 s0, 1, v19
	v_add_nc_u32_e32 v18, 0xfffffc10, v18
	v_and_or_b32 v9, 0x8000, v22, v9
	v_med3_i32 v14, v14, 0, 13
	v_bfe_u32 v22, v17, 20, 11
	s_wait_alu 0xf1ff
	v_cndmask_b32_e64 v7, v23, v7, s0
	v_or_b32_e32 v23, 0x1000, v31
	v_cmp_gt_i32_e64 s2, 1, v18
	v_lshrrev_b32_e32 v17, 16, v17
	s_delay_alu instid0(VALU_DEP_3) | instskip(NEXT) | instid1(VALU_DEP_1)
	v_lshrrev_b32_e32 v5, v14, v23
	v_lshlrev_b32_e32 v6, v14, v5
	v_and_b32_e32 v14, 7, v7
	v_lshrrev_b32_e32 v7, 2, v7
	s_delay_alu instid0(VALU_DEP_3) | instskip(NEXT) | instid1(VALU_DEP_3)
	v_cmp_ne_u32_e64 s0, v6, v23
	v_cmp_eq_u32_e64 s1, 3, v14
	v_cvt_f32_f16_e32 v23, v29
	v_lshl_or_b32 v29, v28, 12, v11
	s_wait_alu 0xf1ff
	v_cndmask_b32_e64 v6, 0, 1, s0
	v_cmp_lt_i32_e64 s0, 5, v14
	v_sub_nc_u32_e32 v14, 0x3f1, v22
	s_delay_alu instid0(VALU_DEP_3) | instskip(NEXT) | instid1(VALU_DEP_3)
	v_or_b32_e32 v5, v5, v6
	s_or_b32 s0, s1, s0
	v_lshl_or_b32 v6, v18, 12, v31
	s_wait_alu 0xfffe
	v_add_co_ci_u32_e64 v7, s0, 0, v7, s0
	v_cmp_ne_u32_e64 s0, 0, v24
	v_and_b32_e32 v24, 0xffff, v25
	v_cndmask_b32_e64 v26, v6, v5, s2
	v_cvt_f64_f32_e32 v[5:6], v23
	v_med3_i32 v14, v14, 0, 13
	s_wait_alu 0xf1ff
	v_cndmask_b32_e64 v23, 0, 1, s0
	v_cmp_gt_i32_e64 s0, 31, v19
	v_lshl_or_b32 v24, v9, 16, v24
	v_and_b32_e32 v9, 7, v26
	v_lshrrev_b32_e32 v25, 2, v26
	v_lshl_or_b32 v23, v23, 9, 0x7c00
	s_wait_alu 0xf1ff
	v_cndmask_b32_e64 v7, 0x7c00, v7, s0
	v_cmp_eq_u32_e64 s0, 0x40f, v19
	v_cmp_eq_u32_e64 s1, 3, v9
	v_or_b32_e32 v19, 0x1000, v16
	s_wait_alu 0xf1ff
	s_delay_alu instid0(VALU_DEP_3) | instskip(SKIP_1) | instid1(VALU_DEP_3)
	v_cndmask_b32_e64 v7, v7, v23, s0
	v_cmp_lt_i32_e64 s0, 5, v9
	v_lshrrev_b32_e32 v9, v14, v19
	v_bfe_u32 v23, v1, 20, 11
	s_delay_alu instid0(VALU_DEP_4) | instskip(NEXT) | instid1(VALU_DEP_4)
	v_and_or_b32 v7, 0x8000, v13, v7
	s_or_b32 s0, s1, s0
	s_delay_alu instid0(VALU_DEP_3)
	v_lshlrev_b32_e32 v14, v14, v9
	s_wait_alu 0xfffe
	v_add_co_ci_u32_e64 v25, s0, 0, v25, s0
	v_cmp_ne_u32_e64 s0, 0, v31
	scratch_load_b32 v31, off, off offset:20 th:TH_LOAD_LU ; 4-byte Folded Reload
	v_sub_nc_u32_e32 v26, 0x3f1, v23
	v_and_b32_e32 v7, 0xffff, v7
	s_wait_alu 0xf1ff
	v_cndmask_b32_e64 v27, 0, 1, s0
	v_cmp_gt_i32_e64 s0, 31, v18
	v_med3_i32 v26, v26, 0, 13
	s_wait_alu 0xf1ff
	s_delay_alu instid0(VALU_DEP_2)
	v_cndmask_b32_e64 v13, 0x7c00, v25, s0
	v_cmp_eq_u32_e64 s0, 0x40f, v18
	s_wait_alu 0xfffd
	v_cndmask_b32_e64 v18, 0, 1, vcc_lo
	v_cmp_gt_i32_e32 vcc_lo, 1, v28
	v_mul_f64_e32 v[5:6], s[10:11], v[5:6]
	v_lshl_or_b32 v25, v27, 9, 0x7c00
	v_or_b32_e32 v27, 0x1000, v0
	v_or_b32_e32 v18, v30, v18
	v_lshrrev_b32_e32 v30, 16, v10
	s_wait_alu 0xf1ff
	v_cndmask_b32_e64 v13, v13, v25, s0
	v_lshrrev_b32_e32 v25, v26, v27
	s_wait_alu 0xfffd
	v_cndmask_b32_e32 v18, v29, v18, vcc_lo
	v_cmp_ne_u32_e32 vcc_lo, v14, v19
	v_add_nc_u32_e32 v19, 0xfffffc10, v22
	v_mul_f16_e32 v29, v32, v30
	v_and_or_b32 v15, 0x8000, v15, v13
	v_and_b32_e32 v22, 7, v18
	s_wait_alu 0xfffd
	v_cndmask_b32_e64 v14, 0, 1, vcc_lo
	v_lshrrev_b32_e32 v18, 2, v18
	v_lshl_or_b32 v13, v19, 12, v16
	v_cmp_gt_i32_e64 s1, 1, v19
	v_cmp_lt_i32_e32 vcc_lo, 5, v22
	v_cmp_eq_u32_e64 s0, 3, v22
	v_or_b32_e32 v9, v9, v14
	v_lshl_or_b32 v7, v15, 16, v7
	v_lshlrev_b32_e32 v26, v26, v25
	s_delay_alu instid0(VALU_DEP_4) | instskip(NEXT) | instid1(VALU_DEP_3)
	s_or_b32 vcc_lo, s0, vcc_lo
	v_cndmask_b32_e64 v9, v13, v9, s1
	s_wait_alu 0xfffe
	v_add_co_ci_u32_e32 v18, vcc_lo, 0, v18, vcc_lo
	v_cmp_ne_u32_e32 vcc_lo, 0, v11
	v_cmp_eq_u32_e64 s1, 0x40f, v28
	v_and_b32_e32 v22, 7, v9
	v_lshrrev_b32_e32 v9, 2, v9
	s_wait_alu 0xfffd
	v_cndmask_b32_e64 v11, 0, 1, vcc_lo
	v_cmp_gt_i32_e32 vcc_lo, 31, v28
	v_cmp_eq_u32_e64 s0, 3, v22
	s_delay_alu instid0(VALU_DEP_3)
	v_lshl_or_b32 v11, v11, 9, 0x7c00
	s_wait_alu 0xfffd
	v_cndmask_b32_e32 v18, 0x7c00, v18, vcc_lo
	v_cmp_lt_i32_e32 vcc_lo, 5, v22
	v_and_or_b32 v5, 0x1ff, v6, v5
	v_add_nc_u32_e32 v22, 0xfffffc10, v23
	s_wait_alu 0xf1ff
	v_cndmask_b32_e64 v11, v18, v11, s1
	s_or_b32 vcc_lo, s0, vcc_lo
	v_bfe_u32 v18, v6, 20, 11
	s_wait_alu 0xfffe
	v_add_co_ci_u32_e32 v9, vcc_lo, 0, v9, vcc_lo
	v_cmp_ne_u32_e32 vcc_lo, 0, v16
	v_and_or_b32 v15, 0x8000, v12, v11
	v_lshrrev_b32_e32 v12, 8, v6
	s_wait_alu 0xfffd
	v_cndmask_b32_e64 v11, 0, 1, vcc_lo
	v_cmp_ne_u32_e32 vcc_lo, 0, v5
	v_and_b32_e32 v28, 0xffff, v15
	s_delay_alu instid0(VALU_DEP_3) | instskip(SKIP_3) | instid1(VALU_DEP_2)
	v_lshl_or_b32 v11, v11, 9, 0x7c00
	s_wait_alu 0xfffd
	v_cndmask_b32_e64 v5, 0, 1, vcc_lo
	v_cmp_gt_i32_e32 vcc_lo, 31, v19
	v_and_or_b32 v5, 0xffe, v12, v5
	s_wait_alu 0xfffd
	v_cndmask_b32_e32 v16, 0x7c00, v9, vcc_lo
	v_cmp_ne_u32_e32 vcc_lo, v26, v27
	v_sub_nc_u32_e32 v26, 0x3f1, v18
	s_wait_alu 0xfffd
	v_cndmask_b32_e64 v12, 0, 1, vcc_lo
	v_cmp_eq_u32_e32 vcc_lo, 0x40f, v19
	s_wait_alu 0xfffd
	v_cndmask_b32_e32 v16, v16, v11, vcc_lo
	v_cmp_gt_i32_e32 vcc_lo, 1, v22
	s_delay_alu instid0(VALU_DEP_2) | instskip(SKIP_3) | instid1(VALU_DEP_2)
	v_and_or_b32 v17, 0x8000, v17, v16
	s_wait_loadcnt 0x0
	v_fmac_f16_e32 v29, v31, v10
	v_mul_f16_e32 v10, v32, v10
	v_cvt_f32_f16_e32 v14, v29
	s_delay_alu instid0(VALU_DEP_2) | instskip(NEXT) | instid1(VALU_DEP_2)
	v_fma_f16 v23, v31, v30, -v10
	v_cvt_f64_f32_e32 v[13:14], v14
	s_delay_alu instid0(VALU_DEP_1)
	v_mul_f64_e32 v[9:10], s[10:11], v[13:14]
	v_or_b32_e32 v13, v25, v12
	v_lshl_or_b32 v14, v22, 12, v0
	v_med3_i32 v25, v26, 0, 13
	v_cvt_f32_f16_e32 v12, v23
	v_or_b32_e32 v23, 0x1000, v5
	s_wait_alu 0xfffd
	v_cndmask_b32_e32 v26, v14, v13, vcc_lo
	v_add_co_u32 v13, vcc_lo, v2, s12
	s_wait_alu 0xfffd
	v_add_co_ci_u32_e32 v14, vcc_lo, s13, v3, vcc_lo
	global_store_b32 v[2:3], v24, off
	global_store_b32 v[13:14], v7, off
	s_clause 0x1
	scratch_load_b32 v30, off, off offset:16 th:TH_LOAD_LU
	scratch_load_b32 v29, off, off offset:12 th:TH_LOAD_LU
	v_lshrrev_b32_e32 v19, v25, v23
	v_and_b32_e32 v27, 7, v26
	v_lshrrev_b32_e32 v15, 2, v26
	v_add_nc_u32_e32 v7, 0xfffffc10, v18
	v_cvt_f64_f32_e32 v[11:12], v12
	v_lshlrev_b32_e32 v16, v25, v19
	v_lshrrev_b32_e32 v25, 16, v4
	v_cmp_lt_i32_e32 vcc_lo, 5, v27
	s_delay_alu instid0(VALU_DEP_3) | instskip(SKIP_2) | instid1(VALU_DEP_2)
	v_cmp_ne_u32_e64 s0, v16, v23
	v_lshl_or_b32 v16, v7, 12, v5
	s_wait_alu 0xf1ff
	v_cndmask_b32_e64 v3, 0, 1, s0
	v_cmp_eq_u32_e64 s0, 3, v27
	v_lshrrev_b32_e32 v27, 16, v1
	s_delay_alu instid0(VALU_DEP_3) | instskip(NEXT) | instid1(VALU_DEP_3)
	v_or_b32_e32 v3, v19, v3
	s_or_b32 vcc_lo, s0, vcc_lo
	v_and_or_b32 v9, 0x1ff, v10, v9
	s_wait_alu 0xfffe
	v_add_co_ci_u32_e32 v18, vcc_lo, 0, v15, vcc_lo
	v_cmp_gt_i32_e32 vcc_lo, 1, v7
	v_lshrrev_b32_e32 v19, 8, v10
	v_bfe_u32 v23, v10, 20, 11
	s_wait_alu 0xfffd
	v_cndmask_b32_e32 v3, v16, v3, vcc_lo
	v_cmp_ne_u32_e32 vcc_lo, 0, v0
	s_wait_alu 0xfffd
	v_cndmask_b32_e64 v0, 0, 1, vcc_lo
	v_cmp_ne_u32_e32 vcc_lo, 0, v9
	s_delay_alu instid0(VALU_DEP_2) | instskip(SKIP_4) | instid1(VALU_DEP_3)
	v_lshl_or_b32 v0, v0, 9, 0x7c00
	s_wait_alu 0xfffd
	v_cndmask_b32_e64 v9, 0, 1, vcc_lo
	v_cmp_gt_i32_e32 vcc_lo, 31, v22
	v_mul_f64_e32 v[11:12], s[10:11], v[11:12]
	v_and_or_b32 v19, 0xffe, v19, v9
	s_wait_alu 0xfffd
	v_cndmask_b32_e32 v18, 0x7c00, v18, vcc_lo
	v_sub_nc_u32_e32 v9, 0x3f1, v23
	s_delay_alu instid0(VALU_DEP_3) | instskip(NEXT) | instid1(VALU_DEP_2)
	v_or_b32_e32 v24, 0x1000, v19
	v_med3_i32 v9, v9, 0, 13
	s_delay_alu instid0(VALU_DEP_1) | instskip(NEXT) | instid1(VALU_DEP_1)
	v_lshrrev_b32_e32 v26, v9, v24
	v_lshlrev_b32_e32 v9, v9, v26
	s_wait_loadcnt 0x1
	v_mul_f16_e32 v2, v30, v25
	s_wait_loadcnt 0x0
	s_delay_alu instid0(VALU_DEP_1) | instskip(SKIP_1) | instid1(VALU_DEP_2)
	v_fmac_f16_e32 v2, v29, v4
	v_mul_f16_e32 v4, v30, v4
	v_cvt_f32_f16_e32 v2, v2
	s_delay_alu instid0(VALU_DEP_2)
	v_fma_f16 v4, v29, v25, -v4
	scratch_load_b32 v29, off, off offset:8 th:TH_LOAD_LU ; 4-byte Folded Reload
	v_lshrrev_b32_e32 v25, 16, v8
	v_cvt_f64_f32_e32 v[15:16], v2
	v_lshl_or_b32 v2, v17, 16, v28
	scratch_load_b32 v28, off, off th:TH_LOAD_LU ; 4-byte Folded Reload
	v_and_b32_e32 v17, 7, v3
	v_lshrrev_b32_e32 v3, 2, v3
	v_cvt_f32_f16_e32 v4, v4
	s_delay_alu instid0(VALU_DEP_3) | instskip(SKIP_1) | instid1(VALU_DEP_1)
	v_cmp_lt_i32_e32 vcc_lo, 5, v17
	v_cmp_eq_u32_e64 s0, 3, v17
	s_or_b32 vcc_lo, s0, vcc_lo
	s_wait_alu 0xfffe
	v_add_co_ci_u32_e32 v3, vcc_lo, 0, v3, vcc_lo
	v_cmp_ne_u32_e32 vcc_lo, 0, v5
	s_wait_alu 0xfffd
	v_cndmask_b32_e64 v5, 0, 1, vcc_lo
	v_cmp_eq_u32_e32 vcc_lo, 0x40f, v22
	s_delay_alu instid0(VALU_DEP_2)
	v_lshl_or_b32 v5, v5, 9, 0x7c00
	s_wait_alu 0xfffd
	v_cndmask_b32_e32 v22, v18, v0, vcc_lo
	v_cmp_gt_i32_e32 vcc_lo, 31, v7
	s_wait_alu 0xfffd
	v_cndmask_b32_e32 v3, 0x7c00, v3, vcc_lo
	v_add_co_u32 v0, vcc_lo, v13, s12
	s_wait_alu 0xfffd
	v_add_co_ci_u32_e32 v1, vcc_lo, s13, v14, vcc_lo
	v_cmp_ne_u32_e32 vcc_lo, v9, v24
	v_mul_f64_e32 v[13:14], s[10:11], v[15:16]
	v_and_or_b32 v15, 0x8000, v27, v22
	v_add_nc_u32_e32 v22, 0xfffffc10, v23
	v_lshrrev_b32_e32 v23, 8, v12
	s_wait_alu 0xfffd
	v_cndmask_b32_e64 v9, 0, 1, vcc_lo
	v_cmp_eq_u32_e32 vcc_lo, 0x40f, v7
	v_bfe_u32 v24, v12, 20, 11
	v_and_b32_e32 v15, 0xffff, v15
	s_delay_alu instid0(VALU_DEP_4)
	v_or_b32_e32 v7, v26, v9
	s_wait_alu 0xfffd
	v_cndmask_b32_e32 v16, v3, v5, vcc_lo
	v_and_or_b32 v5, 0x1ff, v12, v11
	v_lshl_or_b32 v9, v22, 12, v19
	v_cmp_gt_i32_e32 vcc_lo, 1, v22
	v_lshrrev_b32_e32 v11, 16, v6
	v_lshrrev_b32_e32 v12, 16, v12
	s_wait_alu 0xfffd
	v_cndmask_b32_e32 v9, v9, v7, vcc_lo
	v_cmp_ne_u32_e32 vcc_lo, 0, v5
	v_cvt_f64_f32_e32 v[4:5], v4
	v_and_or_b32 v11, 0x8000, v11, v16
	s_delay_alu instid0(VALU_DEP_1)
	v_lshl_or_b32 v11, v11, 16, v15
	v_and_or_b32 v13, 0x1ff, v14, v13
	s_wait_loadcnt 0x1
	v_mul_f16_e32 v26, v29, v25
	s_wait_loadcnt 0x0
	v_mad_co_u64_u32 v[17:18], null, s8, v28, 0
	s_delay_alu instid0(VALU_DEP_1) | instskip(SKIP_2) | instid1(VALU_DEP_2)
	v_mov_b32_e32 v3, v18
	s_wait_alu 0xfffd
	v_cndmask_b32_e64 v18, 0, 1, vcc_lo
	v_mad_co_u64_u32 v[6:7], null, s9, v28, v[3:4]
	scratch_load_b32 v28, off, off offset:4 th:TH_LOAD_LU ; 4-byte Folded Reload
	v_and_or_b32 v23, 0xffe, v23, v18
	v_sub_nc_u32_e32 v7, 0x3f1, v24
	v_and_b32_e32 v3, 7, v9
	v_add_nc_u32_e32 v24, 0xfffffc10, v24
	s_delay_alu instid0(VALU_DEP_4) | instskip(NEXT) | instid1(VALU_DEP_4)
	v_or_b32_e32 v16, 0x1000, v23
	v_med3_i32 v27, v7, 0, 13
	s_delay_alu instid0(VALU_DEP_4) | instskip(SKIP_4) | instid1(VALU_DEP_4)
	v_cmp_lt_i32_e32 vcc_lo, 5, v3
	v_cmp_eq_u32_e64 s0, 3, v3
	v_mov_b32_e32 v18, v6
	v_lshrrev_b32_e32 v3, 2, v9
	v_lshrrev_b32_e32 v9, v27, v16
	s_or_b32 vcc_lo, s0, vcc_lo
	s_wait_loadcnt 0x0
	v_fmac_f16_e32 v26, v28, v8
	s_delay_alu instid0(VALU_DEP_1)
	v_cvt_f32_f16_e32 v6, v26
	s_wait_alu 0xfffe
	v_add_co_ci_u32_e32 v26, vcc_lo, 0, v3, vcc_lo
	v_mul_f16_e32 v3, v29, v8
	v_lshlrev_b32_e32 v8, v27, v9
	v_cvt_f64_f32_e32 v[6:7], v6
	v_cmp_ne_u32_e32 vcc_lo, 0, v13
	v_lshrrev_b32_e32 v27, 8, v14
	v_fma_f16 v3, v28, v25, -v3
	v_bfe_u32 v25, v14, 20, 11
	v_lshrrev_b32_e32 v14, 16, v14
	s_wait_alu 0xfffd
	v_cndmask_b32_e64 v13, 0, 1, vcc_lo
	v_cmp_ne_u32_e32 vcc_lo, v8, v16
	v_cvt_f32_f16_e32 v16, v3
	v_mul_f64_e32 v[3:4], s[10:11], v[4:5]
	s_delay_alu instid0(VALU_DEP_4)
	v_and_or_b32 v13, 0xffe, v27, v13
	s_wait_alu 0xfffd
	v_cndmask_b32_e64 v8, 0, 1, vcc_lo
	v_sub_nc_u32_e32 v27, 0x3f1, v25
	v_cmp_ne_u32_e32 vcc_lo, 0, v19
	v_or_b32_e32 v28, 0x1000, v13
	s_delay_alu instid0(VALU_DEP_4)
	v_or_b32_e32 v5, v9, v8
	v_cvt_f64_f32_e32 v[8:9], v16
	v_med3_i32 v16, v27, 0, 13
	v_lshl_or_b32 v27, v24, 12, v23
	s_wait_alu 0xfffd
	v_cndmask_b32_e64 v19, 0, 1, vcc_lo
	v_cmp_gt_i32_e32 vcc_lo, 1, v24
	v_lshrrev_b32_e32 v29, v16, v28
	s_delay_alu instid0(VALU_DEP_3) | instskip(SKIP_4) | instid1(VALU_DEP_2)
	v_lshl_or_b32 v19, v19, 9, 0x7c00
	s_wait_alu 0xfffd
	v_cndmask_b32_e32 v27, v27, v5, vcc_lo
	v_cmp_gt_i32_e32 vcc_lo, 31, v22
	s_wait_alu 0xfffd
	v_dual_cndmask_b32 v5, 0x7c00, v26 :: v_dual_and_b32 v30, 7, v27
	v_cmp_eq_u32_e32 vcc_lo, 0x40f, v22
	v_lshlrev_b32_e32 v26, v16, v29
	v_lshlrev_b64_e32 v[15:16], 2, v[17:18]
	s_delay_alu instid0(VALU_DEP_4)
	v_cmp_eq_u32_e64 s0, 3, v30
	v_lshrrev_b32_e32 v18, 16, v10
	s_wait_alu 0xfffd
	v_cndmask_b32_e32 v17, v5, v19, vcc_lo
	v_cmp_lt_i32_e32 vcc_lo, 5, v30
	v_mul_f64_e32 v[5:6], s[10:11], v[6:7]
	v_lshrrev_b32_e32 v7, 2, v27
	v_cmp_ne_u32_e64 s1, v26, v28
	v_add_nc_u32_e32 v19, 0xfffffc10, v25
	s_or_b32 vcc_lo, s0, vcc_lo
	v_and_or_b32 v17, 0x8000, v18, v17
	s_wait_alu 0xfffe
	v_add_co_ci_u32_e32 v7, vcc_lo, 0, v7, vcc_lo
	v_cmp_ne_u32_e32 vcc_lo, 0, v23
	v_cndmask_b32_e64 v10, 0, 1, s1
	v_lshl_or_b32 v25, v19, 12, v13
	v_and_or_b32 v3, 0x1ff, v4, v3
	v_and_b32_e32 v17, 0xffff, v17
	s_wait_alu 0xfffd
	v_cndmask_b32_e64 v22, 0, 1, vcc_lo
	v_cmp_gt_i32_e32 vcc_lo, 31, v24
	v_or_b32_e32 v23, v29, v10
	s_delay_alu instid0(VALU_DEP_3)
	v_lshl_or_b32 v22, v22, 9, 0x7c00
	s_wait_alu 0xfffd
	v_cndmask_b32_e32 v26, 0x7c00, v7, vcc_lo
	v_mul_f64_e32 v[7:8], s[10:11], v[8:9]
	v_add_co_u32 v9, vcc_lo, v21, v15
	s_wait_alu 0xfffd
	v_add_co_ci_u32_e32 v10, vcc_lo, v20, v16, vcc_lo
	v_cmp_gt_i32_e32 vcc_lo, 1, v19
	v_lshrrev_b32_e32 v16, 8, v4
	v_bfe_u32 v20, v4, 20, 11
	v_lshrrev_b32_e32 v4, 16, v4
	s_wait_alu 0xfffd
	v_cndmask_b32_e32 v15, v25, v23, vcc_lo
	v_cmp_ne_u32_e32 vcc_lo, 0, v3
	s_wait_alu 0xfffd
	v_cndmask_b32_e64 v3, 0, 1, vcc_lo
	v_cmp_eq_u32_e32 vcc_lo, 0x40f, v24
	v_and_or_b32 v5, 0x1ff, v6, v5
	v_bfe_u32 v23, v6, 20, 11
	s_delay_alu instid0(VALU_DEP_4)
	v_and_or_b32 v3, 0xffe, v16, v3
	s_wait_alu 0xfffd
	v_dual_cndmask_b32 v21, v26, v22 :: v_dual_and_b32 v22, 7, v15
	v_sub_nc_u32_e32 v16, 0x3f1, v20
	v_lshrrev_b32_e32 v15, 2, v15
	v_or_b32_e32 v18, 0x1000, v3
	s_delay_alu instid0(VALU_DEP_4)
	v_and_or_b32 v12, 0x8000, v12, v21
	v_cmp_lt_i32_e32 vcc_lo, 5, v22
	v_cmp_eq_u32_e64 s0, 3, v22
	v_med3_i32 v16, v16, 0, 13
	v_lshrrev_b32_e32 v22, 8, v6
	v_lshrrev_b32_e32 v6, 16, v6
	v_lshl_or_b32 v12, v12, 16, v17
	s_or_b32 vcc_lo, s0, vcc_lo
	v_lshrrev_b32_e32 v21, v16, v18
	s_wait_alu 0xfffe
	v_add_co_ci_u32_e32 v15, vcc_lo, 0, v15, vcc_lo
	v_cmp_ne_u32_e32 vcc_lo, 0, v5
	v_and_or_b32 v7, 0x1ff, v8, v7
	v_lshlrev_b32_e32 v16, v16, v21
	v_lshrrev_b32_e32 v24, 8, v8
	v_bfe_u32 v25, v8, 20, 11
	s_wait_alu 0xfffd
	v_cndmask_b32_e64 v5, 0, 1, vcc_lo
	v_cmp_ne_u32_e32 vcc_lo, 0, v13
	s_delay_alu instid0(VALU_DEP_2)
	v_and_or_b32 v5, 0xffe, v22, v5
	s_wait_alu 0xfffd
	v_cndmask_b32_e64 v13, 0, 1, vcc_lo
	v_cmp_ne_u32_e32 vcc_lo, v16, v18
	v_sub_nc_u32_e32 v22, 0x3f1, v23
	v_add_nc_u32_e32 v18, 0xfffffc10, v20
	v_or_b32_e32 v20, 0x1000, v5
	v_lshl_or_b32 v13, v13, 9, 0x7c00
	s_wait_alu 0xfffd
	v_cndmask_b32_e64 v16, 0, 1, vcc_lo
	v_cmp_gt_i32_e32 vcc_lo, 31, v19
	v_med3_i32 v22, v22, 0, 13
	s_delay_alu instid0(VALU_DEP_3)
	v_or_b32_e32 v16, v21, v16
	s_wait_alu 0xfffd
	v_cndmask_b32_e32 v15, 0x7c00, v15, vcc_lo
	v_cmp_ne_u32_e32 vcc_lo, 0, v7
	v_lshl_or_b32 v21, v18, 12, v3
	v_lshrrev_b32_e32 v26, v22, v20
	s_wait_alu 0xfffd
	v_cndmask_b32_e64 v7, 0, 1, vcc_lo
	v_cmp_gt_i32_e32 vcc_lo, 1, v18
	s_delay_alu instid0(VALU_DEP_2)
	v_and_or_b32 v7, 0xffe, v24, v7
	v_sub_nc_u32_e32 v24, 0x3f1, v25
	s_wait_alu 0xfffd
	v_dual_cndmask_b32 v16, v21, v16 :: v_dual_lshlrev_b32 v21, v22, v26
	v_cmp_eq_u32_e32 vcc_lo, 0x40f, v19
	v_or_b32_e32 v22, 0x1000, v7
	v_med3_i32 v24, v24, 0, 13
	v_add_nc_u32_e32 v19, 0xfffffc10, v23
	v_and_b32_e32 v27, 7, v16
	s_wait_alu 0xfffd
	v_cndmask_b32_e32 v13, v15, v13, vcc_lo
	v_cmp_ne_u32_e32 vcc_lo, v21, v20
	v_lshrrev_b32_e32 v20, v24, v22
	v_lshl_or_b32 v21, v19, 12, v5
	v_cmp_gt_i32_e64 s1, 1, v19
	v_cmp_eq_u32_e64 s0, 3, v27
	s_wait_alu 0xfffd
	v_cndmask_b32_e64 v15, 0, 1, vcc_lo
	v_lshlrev_b32_e32 v23, v24, v20
	v_cmp_lt_i32_e32 vcc_lo, 5, v27
	v_lshrrev_b32_e32 v16, 2, v16
	v_and_or_b32 v13, 0x8000, v14, v13
	v_or_b32_e32 v15, v26, v15
	s_or_b32 vcc_lo, s0, vcc_lo
	s_wait_alu 0xfffe
	v_add_co_ci_u32_e32 v16, vcc_lo, 0, v16, vcc_lo
	s_delay_alu instid0(VALU_DEP_2)
	v_cndmask_b32_e64 v15, v21, v15, s1
	v_cmp_ne_u32_e64 s1, v23, v22
	v_add_nc_u32_e32 v22, 0xfffffc10, v25
	v_cmp_ne_u32_e32 vcc_lo, 0, v3
	v_and_b32_e32 v13, 0xffff, v13
	v_and_b32_e32 v23, 7, v15
	s_wait_alu 0xf1ff
	v_cndmask_b32_e64 v21, 0, 1, s1
	v_cmp_gt_i32_e64 s0, 1, v22
	s_wait_alu 0xfffd
	v_cndmask_b32_e64 v3, 0, 1, vcc_lo
	v_lshrrev_b32_e32 v15, 2, v15
	v_cmp_lt_i32_e32 vcc_lo, 5, v23
	v_or_b32_e32 v20, v20, v21
	v_lshl_or_b32 v21, v22, 12, v7
	v_cmp_gt_i32_e64 s1, 31, v18
	v_lshl_or_b32 v3, v3, 9, 0x7c00
	s_wait_alu 0xf1ff
	s_delay_alu instid0(VALU_DEP_3) | instskip(SKIP_3) | instid1(VALU_DEP_4)
	v_cndmask_b32_e64 v14, v21, v20, s0
	v_cmp_eq_u32_e64 s0, 3, v23
	v_cndmask_b32_e64 v16, 0x7c00, v16, s1
	v_cmp_eq_u32_e64 s1, 0x40f, v18
	v_and_b32_e32 v20, 7, v14
	s_delay_alu instid0(VALU_DEP_4)
	s_or_b32 vcc_lo, s0, vcc_lo
	v_lshrrev_b32_e32 v14, 2, v14
	s_wait_alu 0xfffe
	v_add_co_ci_u32_e32 v15, vcc_lo, 0, v15, vcc_lo
	v_cmp_ne_u32_e32 vcc_lo, 0, v5
	v_cmp_eq_u32_e64 s0, 3, v20
	v_cndmask_b32_e64 v3, v16, v3, s1
	v_cmp_gt_i32_e64 s1, 31, v19
	s_wait_alu 0xfffd
	v_cndmask_b32_e64 v5, 0, 1, vcc_lo
	v_cmp_lt_i32_e32 vcc_lo, 5, v20
	s_wait_alu 0xf1ff
	v_cndmask_b32_e64 v15, 0x7c00, v15, s1
	s_delay_alu instid0(VALU_DEP_3)
	v_lshl_or_b32 v5, v5, 9, 0x7c00
	s_or_b32 vcc_lo, s0, vcc_lo
	s_wait_alu 0xfffe
	v_add_co_ci_u32_e32 v14, vcc_lo, 0, v14, vcc_lo
	v_cmp_ne_u32_e32 vcc_lo, 0, v7
	s_wait_alu 0xfffd
	v_cndmask_b32_e64 v7, 0, 1, vcc_lo
	v_cmp_eq_u32_e32 vcc_lo, 0x40f, v19
	s_delay_alu instid0(VALU_DEP_2) | instskip(SKIP_4) | instid1(VALU_DEP_3)
	v_lshl_or_b32 v7, v7, 9, 0x7c00
	s_wait_alu 0xfffd
	v_cndmask_b32_e32 v5, v15, v5, vcc_lo
	v_cmp_gt_i32_e32 vcc_lo, 31, v22
	v_and_or_b32 v15, 0x8000, v4, v3
	v_and_or_b32 v5, 0x8000, v6, v5
	s_wait_alu 0xfffd
	v_cndmask_b32_e32 v14, 0x7c00, v14, vcc_lo
	v_cmp_eq_u32_e32 vcc_lo, 0x40f, v22
	v_lshl_or_b32 v13, v15, 16, v13
	s_wait_alu 0xfffd
	s_delay_alu instid0(VALU_DEP_3) | instskip(SKIP_4) | instid1(VALU_DEP_3)
	v_cndmask_b32_e32 v6, v14, v7, vcc_lo
	v_lshrrev_b32_e32 v7, 16, v8
	v_add_co_u32 v3, vcc_lo, v0, s14
	s_wait_alu 0xfffd
	v_add_co_ci_u32_e32 v4, vcc_lo, s15, v1, vcc_lo
	v_and_or_b32 v7, 0x8000, v7, v6
	v_and_b32_e32 v8, 0xffff, v5
	v_add_co_u32 v5, vcc_lo, v3, s12
	s_wait_alu 0xfffd
	v_add_co_ci_u32_e32 v6, vcc_lo, s13, v4, vcc_lo
	s_delay_alu instid0(VALU_DEP_3) | instskip(NEXT) | instid1(VALU_DEP_3)
	v_lshl_or_b32 v14, v7, 16, v8
	v_add_co_u32 v7, vcc_lo, v5, s12
	s_wait_alu 0xfffd
	s_delay_alu instid0(VALU_DEP_3)
	v_add_co_ci_u32_e32 v8, vcc_lo, s13, v6, vcc_lo
	global_store_b32 v[0:1], v2, off
	global_store_b32 v[9:10], v11, off
	;; [unrolled: 1-line block ×5, first 2 shown]
.LBB0_2:
	s_nop 0
	s_sendmsg sendmsg(MSG_DEALLOC_VGPRS)
	s_endpgm
	.section	.rodata,"a",@progbits
	.p2align	6, 0x0
	.amdhsa_kernel bluestein_single_back_len2880_dim1_half_op_CI_CI
		.amdhsa_group_segment_fixed_size 11520
		.amdhsa_private_segment_fixed_size 288
		.amdhsa_kernarg_size 104
		.amdhsa_user_sgpr_count 2
		.amdhsa_user_sgpr_dispatch_ptr 0
		.amdhsa_user_sgpr_queue_ptr 0
		.amdhsa_user_sgpr_kernarg_segment_ptr 1
		.amdhsa_user_sgpr_dispatch_id 0
		.amdhsa_user_sgpr_private_segment_size 0
		.amdhsa_wavefront_size32 1
		.amdhsa_uses_dynamic_stack 0
		.amdhsa_enable_private_segment 1
		.amdhsa_system_sgpr_workgroup_id_x 1
		.amdhsa_system_sgpr_workgroup_id_y 0
		.amdhsa_system_sgpr_workgroup_id_z 0
		.amdhsa_system_sgpr_workgroup_info 0
		.amdhsa_system_vgpr_workitem_id 0
		.amdhsa_next_free_vgpr 256
		.amdhsa_next_free_sgpr 20
		.amdhsa_reserve_vcc 1
		.amdhsa_float_round_mode_32 0
		.amdhsa_float_round_mode_16_64 0
		.amdhsa_float_denorm_mode_32 3
		.amdhsa_float_denorm_mode_16_64 3
		.amdhsa_fp16_overflow 0
		.amdhsa_workgroup_processor_mode 1
		.amdhsa_memory_ordered 1
		.amdhsa_forward_progress 0
		.amdhsa_round_robin_scheduling 0
		.amdhsa_exception_fp_ieee_invalid_op 0
		.amdhsa_exception_fp_denorm_src 0
		.amdhsa_exception_fp_ieee_div_zero 0
		.amdhsa_exception_fp_ieee_overflow 0
		.amdhsa_exception_fp_ieee_underflow 0
		.amdhsa_exception_fp_ieee_inexact 0
		.amdhsa_exception_int_div_zero 0
	.end_amdhsa_kernel
	.text
.Lfunc_end0:
	.size	bluestein_single_back_len2880_dim1_half_op_CI_CI, .Lfunc_end0-bluestein_single_back_len2880_dim1_half_op_CI_CI
                                        ; -- End function
	.section	.AMDGPU.csdata,"",@progbits
; Kernel info:
; codeLenInByte = 59932
; NumSgprs: 22
; NumVgprs: 256
; ScratchSize: 288
; MemoryBound: 0
; FloatMode: 240
; IeeeMode: 1
; LDSByteSize: 11520 bytes/workgroup (compile time only)
; SGPRBlocks: 2
; VGPRBlocks: 31
; NumSGPRsForWavesPerEU: 22
; NumVGPRsForWavesPerEU: 256
; Occupancy: 5
; WaveLimiterHint : 1
; COMPUTE_PGM_RSRC2:SCRATCH_EN: 1
; COMPUTE_PGM_RSRC2:USER_SGPR: 2
; COMPUTE_PGM_RSRC2:TRAP_HANDLER: 0
; COMPUTE_PGM_RSRC2:TGID_X_EN: 1
; COMPUTE_PGM_RSRC2:TGID_Y_EN: 0
; COMPUTE_PGM_RSRC2:TGID_Z_EN: 0
; COMPUTE_PGM_RSRC2:TIDIG_COMP_CNT: 0
	.text
	.p2alignl 7, 3214868480
	.fill 96, 4, 3214868480
	.type	__hip_cuid_c440c75c7d81e457,@object ; @__hip_cuid_c440c75c7d81e457
	.section	.bss,"aw",@nobits
	.globl	__hip_cuid_c440c75c7d81e457
__hip_cuid_c440c75c7d81e457:
	.byte	0                               ; 0x0
	.size	__hip_cuid_c440c75c7d81e457, 1

	.ident	"AMD clang version 19.0.0git (https://github.com/RadeonOpenCompute/llvm-project roc-6.4.0 25133 c7fe45cf4b819c5991fe208aaa96edf142730f1d)"
	.section	".note.GNU-stack","",@progbits
	.addrsig
	.addrsig_sym __hip_cuid_c440c75c7d81e457
	.amdgpu_metadata
---
amdhsa.kernels:
  - .args:
      - .actual_access:  read_only
        .address_space:  global
        .offset:         0
        .size:           8
        .value_kind:     global_buffer
      - .actual_access:  read_only
        .address_space:  global
        .offset:         8
        .size:           8
        .value_kind:     global_buffer
      - .actual_access:  read_only
        .address_space:  global
        .offset:         16
        .size:           8
        .value_kind:     global_buffer
      - .actual_access:  read_only
        .address_space:  global
        .offset:         24
        .size:           8
        .value_kind:     global_buffer
      - .actual_access:  read_only
        .address_space:  global
        .offset:         32
        .size:           8
        .value_kind:     global_buffer
      - .offset:         40
        .size:           8
        .value_kind:     by_value
      - .address_space:  global
        .offset:         48
        .size:           8
        .value_kind:     global_buffer
      - .address_space:  global
        .offset:         56
        .size:           8
        .value_kind:     global_buffer
      - .address_space:  global
        .offset:         64
        .size:           8
        .value_kind:     global_buffer
      - .address_space:  global
        .offset:         72
        .size:           8
        .value_kind:     global_buffer
      - .offset:         80
        .size:           4
        .value_kind:     by_value
      - .address_space:  global
        .offset:         88
        .size:           8
        .value_kind:     global_buffer
      - .address_space:  global
        .offset:         96
        .size:           8
        .value_kind:     global_buffer
    .group_segment_fixed_size: 11520
    .kernarg_segment_align: 8
    .kernarg_segment_size: 104
    .language:       OpenCL C
    .language_version:
      - 2
      - 0
    .max_flat_workgroup_size: 96
    .name:           bluestein_single_back_len2880_dim1_half_op_CI_CI
    .private_segment_fixed_size: 288
    .sgpr_count:     22
    .sgpr_spill_count: 0
    .symbol:         bluestein_single_back_len2880_dim1_half_op_CI_CI.kd
    .uniform_work_group_size: 1
    .uses_dynamic_stack: false
    .vgpr_count:     256
    .vgpr_spill_count: 71
    .wavefront_size: 32
    .workgroup_processor_mode: 1
amdhsa.target:   amdgcn-amd-amdhsa--gfx1201
amdhsa.version:
  - 1
  - 2
...

	.end_amdgpu_metadata
